;; amdgpu-corpus repo=ROCm/rocFFT kind=compiled arch=gfx1030 opt=O3
	.text
	.amdgcn_target "amdgcn-amd-amdhsa--gfx1030"
	.amdhsa_code_object_version 6
	.protected	fft_rtc_fwd_len1650_factors_11_2_3_5_5_wgs_110_tpt_110_halfLds_dp_op_CI_CI_unitstride_sbrr_C2R_dirReg ; -- Begin function fft_rtc_fwd_len1650_factors_11_2_3_5_5_wgs_110_tpt_110_halfLds_dp_op_CI_CI_unitstride_sbrr_C2R_dirReg
	.globl	fft_rtc_fwd_len1650_factors_11_2_3_5_5_wgs_110_tpt_110_halfLds_dp_op_CI_CI_unitstride_sbrr_C2R_dirReg
	.p2align	8
	.type	fft_rtc_fwd_len1650_factors_11_2_3_5_5_wgs_110_tpt_110_halfLds_dp_op_CI_CI_unitstride_sbrr_C2R_dirReg,@function
fft_rtc_fwd_len1650_factors_11_2_3_5_5_wgs_110_tpt_110_halfLds_dp_op_CI_CI_unitstride_sbrr_C2R_dirReg: ; @fft_rtc_fwd_len1650_factors_11_2_3_5_5_wgs_110_tpt_110_halfLds_dp_op_CI_CI_unitstride_sbrr_C2R_dirReg
; %bb.0:
	s_clause 0x2
	s_load_dwordx4 s[12:15], s[4:5], 0x0
	s_load_dwordx4 s[8:11], s[4:5], 0x58
	;; [unrolled: 1-line block ×3, first 2 shown]
	v_mul_u32_u24_e32 v1, 0x254, v0
	v_mov_b32_e32 v3, 0
	v_add_nc_u32_sdwa v5, s6, v1 dst_sel:DWORD dst_unused:UNUSED_PAD src0_sel:DWORD src1_sel:WORD_1
	v_mov_b32_e32 v1, 0
	v_mov_b32_e32 v6, v3
	v_mov_b32_e32 v2, 0
	s_waitcnt lgkmcnt(0)
	v_cmp_lt_u64_e64 s0, s[14:15], 2
	s_and_b32 vcc_lo, exec_lo, s0
	s_cbranch_vccnz .LBB0_8
; %bb.1:
	s_load_dwordx2 s[0:1], s[4:5], 0x10
	v_mov_b32_e32 v1, 0
	v_mov_b32_e32 v2, 0
	s_add_u32 s2, s18, 8
	s_addc_u32 s3, s19, 0
	s_add_u32 s6, s16, 8
	s_addc_u32 s7, s17, 0
	v_mov_b32_e32 v101, v2
	v_mov_b32_e32 v100, v1
	s_mov_b64 s[22:23], 1
	s_waitcnt lgkmcnt(0)
	s_add_u32 s20, s0, 8
	s_addc_u32 s21, s1, 0
.LBB0_2:                                ; =>This Inner Loop Header: Depth=1
	s_load_dwordx2 s[24:25], s[20:21], 0x0
                                        ; implicit-def: $vgpr104_vgpr105
	s_mov_b32 s0, exec_lo
	s_waitcnt lgkmcnt(0)
	v_or_b32_e32 v4, s25, v6
	v_cmpx_ne_u64_e32 0, v[3:4]
	s_xor_b32 s1, exec_lo, s0
	s_cbranch_execz .LBB0_4
; %bb.3:                                ;   in Loop: Header=BB0_2 Depth=1
	v_cvt_f32_u32_e32 v4, s24
	v_cvt_f32_u32_e32 v7, s25
	s_sub_u32 s0, 0, s24
	s_subb_u32 s26, 0, s25
	v_fmac_f32_e32 v4, 0x4f800000, v7
	v_rcp_f32_e32 v4, v4
	v_mul_f32_e32 v4, 0x5f7ffffc, v4
	v_mul_f32_e32 v7, 0x2f800000, v4
	v_trunc_f32_e32 v7, v7
	v_fmac_f32_e32 v4, 0xcf800000, v7
	v_cvt_u32_f32_e32 v7, v7
	v_cvt_u32_f32_e32 v4, v4
	v_mul_lo_u32 v8, s0, v7
	v_mul_hi_u32 v9, s0, v4
	v_mul_lo_u32 v10, s26, v4
	v_add_nc_u32_e32 v8, v9, v8
	v_mul_lo_u32 v9, s0, v4
	v_add_nc_u32_e32 v8, v8, v10
	v_mul_hi_u32 v10, v4, v9
	v_mul_lo_u32 v11, v4, v8
	v_mul_hi_u32 v12, v4, v8
	v_mul_hi_u32 v13, v7, v9
	v_mul_lo_u32 v9, v7, v9
	v_mul_hi_u32 v14, v7, v8
	v_mul_lo_u32 v8, v7, v8
	v_add_co_u32 v10, vcc_lo, v10, v11
	v_add_co_ci_u32_e32 v11, vcc_lo, 0, v12, vcc_lo
	v_add_co_u32 v9, vcc_lo, v10, v9
	v_add_co_ci_u32_e32 v9, vcc_lo, v11, v13, vcc_lo
	v_add_co_ci_u32_e32 v10, vcc_lo, 0, v14, vcc_lo
	v_add_co_u32 v8, vcc_lo, v9, v8
	v_add_co_ci_u32_e32 v9, vcc_lo, 0, v10, vcc_lo
	v_add_co_u32 v4, vcc_lo, v4, v8
	v_add_co_ci_u32_e32 v7, vcc_lo, v7, v9, vcc_lo
	v_mul_hi_u32 v8, s0, v4
	v_mul_lo_u32 v10, s26, v4
	v_mul_lo_u32 v9, s0, v7
	v_add_nc_u32_e32 v8, v8, v9
	v_mul_lo_u32 v9, s0, v4
	v_add_nc_u32_e32 v8, v8, v10
	v_mul_hi_u32 v10, v4, v9
	v_mul_lo_u32 v11, v4, v8
	v_mul_hi_u32 v12, v4, v8
	v_mul_hi_u32 v13, v7, v9
	v_mul_lo_u32 v9, v7, v9
	v_mul_hi_u32 v14, v7, v8
	v_mul_lo_u32 v8, v7, v8
	v_add_co_u32 v10, vcc_lo, v10, v11
	v_add_co_ci_u32_e32 v11, vcc_lo, 0, v12, vcc_lo
	v_add_co_u32 v9, vcc_lo, v10, v9
	v_add_co_ci_u32_e32 v9, vcc_lo, v11, v13, vcc_lo
	v_add_co_ci_u32_e32 v10, vcc_lo, 0, v14, vcc_lo
	v_add_co_u32 v8, vcc_lo, v9, v8
	v_add_co_ci_u32_e32 v9, vcc_lo, 0, v10, vcc_lo
	v_add_co_u32 v4, vcc_lo, v4, v8
	v_add_co_ci_u32_e32 v11, vcc_lo, v7, v9, vcc_lo
	v_mul_hi_u32 v13, v5, v4
	v_mad_u64_u32 v[9:10], null, v6, v4, 0
	v_mad_u64_u32 v[7:8], null, v5, v11, 0
	;; [unrolled: 1-line block ×3, first 2 shown]
	v_add_co_u32 v4, vcc_lo, v13, v7
	v_add_co_ci_u32_e32 v7, vcc_lo, 0, v8, vcc_lo
	v_add_co_u32 v4, vcc_lo, v4, v9
	v_add_co_ci_u32_e32 v4, vcc_lo, v7, v10, vcc_lo
	v_add_co_ci_u32_e32 v7, vcc_lo, 0, v12, vcc_lo
	v_add_co_u32 v4, vcc_lo, v4, v11
	v_add_co_ci_u32_e32 v9, vcc_lo, 0, v7, vcc_lo
	v_mul_lo_u32 v10, s25, v4
	v_mad_u64_u32 v[7:8], null, s24, v4, 0
	v_mul_lo_u32 v11, s24, v9
	v_sub_co_u32 v7, vcc_lo, v5, v7
	v_add3_u32 v8, v8, v11, v10
	v_sub_nc_u32_e32 v10, v6, v8
	v_subrev_co_ci_u32_e64 v10, s0, s25, v10, vcc_lo
	v_add_co_u32 v11, s0, v4, 2
	v_add_co_ci_u32_e64 v12, s0, 0, v9, s0
	v_sub_co_u32 v13, s0, v7, s24
	v_sub_co_ci_u32_e32 v8, vcc_lo, v6, v8, vcc_lo
	v_subrev_co_ci_u32_e64 v10, s0, 0, v10, s0
	v_cmp_le_u32_e32 vcc_lo, s24, v13
	v_cmp_eq_u32_e64 s0, s25, v8
	v_cndmask_b32_e64 v13, 0, -1, vcc_lo
	v_cmp_le_u32_e32 vcc_lo, s25, v10
	v_cndmask_b32_e64 v14, 0, -1, vcc_lo
	v_cmp_le_u32_e32 vcc_lo, s24, v7
	;; [unrolled: 2-line block ×3, first 2 shown]
	v_cndmask_b32_e64 v15, 0, -1, vcc_lo
	v_cmp_eq_u32_e32 vcc_lo, s25, v10
	v_cndmask_b32_e64 v7, v15, v7, s0
	v_cndmask_b32_e32 v10, v14, v13, vcc_lo
	v_add_co_u32 v13, vcc_lo, v4, 1
	v_add_co_ci_u32_e32 v14, vcc_lo, 0, v9, vcc_lo
	v_cmp_ne_u32_e32 vcc_lo, 0, v10
	v_cndmask_b32_e32 v8, v14, v12, vcc_lo
	v_cndmask_b32_e32 v10, v13, v11, vcc_lo
	v_cmp_ne_u32_e32 vcc_lo, 0, v7
	v_cndmask_b32_e32 v105, v9, v8, vcc_lo
	v_cndmask_b32_e32 v104, v4, v10, vcc_lo
.LBB0_4:                                ;   in Loop: Header=BB0_2 Depth=1
	s_andn2_saveexec_b32 s0, s1
	s_cbranch_execz .LBB0_6
; %bb.5:                                ;   in Loop: Header=BB0_2 Depth=1
	v_cvt_f32_u32_e32 v4, s24
	s_sub_i32 s1, 0, s24
	v_mov_b32_e32 v105, v3
	v_rcp_iflag_f32_e32 v4, v4
	v_mul_f32_e32 v4, 0x4f7ffffe, v4
	v_cvt_u32_f32_e32 v4, v4
	v_mul_lo_u32 v7, s1, v4
	v_mul_hi_u32 v7, v4, v7
	v_add_nc_u32_e32 v4, v4, v7
	v_mul_hi_u32 v4, v5, v4
	v_mul_lo_u32 v7, v4, s24
	v_add_nc_u32_e32 v8, 1, v4
	v_sub_nc_u32_e32 v7, v5, v7
	v_subrev_nc_u32_e32 v9, s24, v7
	v_cmp_le_u32_e32 vcc_lo, s24, v7
	v_cndmask_b32_e32 v7, v7, v9, vcc_lo
	v_cndmask_b32_e32 v4, v4, v8, vcc_lo
	v_cmp_le_u32_e32 vcc_lo, s24, v7
	v_add_nc_u32_e32 v8, 1, v4
	v_cndmask_b32_e32 v104, v4, v8, vcc_lo
.LBB0_6:                                ;   in Loop: Header=BB0_2 Depth=1
	s_or_b32 exec_lo, exec_lo, s0
	v_mul_lo_u32 v4, v105, s24
	v_mul_lo_u32 v9, v104, s25
	s_load_dwordx2 s[0:1], s[6:7], 0x0
	v_mad_u64_u32 v[7:8], null, v104, s24, 0
	s_load_dwordx2 s[24:25], s[2:3], 0x0
	s_add_u32 s22, s22, 1
	s_addc_u32 s23, s23, 0
	s_add_u32 s2, s2, 8
	s_addc_u32 s3, s3, 0
	s_add_u32 s6, s6, 8
	v_add3_u32 v4, v8, v9, v4
	v_sub_co_u32 v5, vcc_lo, v5, v7
	s_addc_u32 s7, s7, 0
	s_add_u32 s20, s20, 8
	v_sub_co_ci_u32_e32 v4, vcc_lo, v6, v4, vcc_lo
	s_addc_u32 s21, s21, 0
	s_waitcnt lgkmcnt(0)
	v_mul_lo_u32 v6, s0, v4
	v_mul_lo_u32 v7, s1, v5
	v_mad_u64_u32 v[1:2], null, s0, v5, v[1:2]
	v_mul_lo_u32 v4, s24, v4
	v_mul_lo_u32 v8, s25, v5
	v_mad_u64_u32 v[100:101], null, s24, v5, v[100:101]
	v_cmp_ge_u64_e64 s0, s[22:23], s[14:15]
	v_add3_u32 v2, v7, v2, v6
	v_add3_u32 v101, v8, v101, v4
	s_and_b32 vcc_lo, exec_lo, s0
	s_cbranch_vccnz .LBB0_9
; %bb.7:                                ;   in Loop: Header=BB0_2 Depth=1
	v_mov_b32_e32 v5, v104
	v_mov_b32_e32 v6, v105
	s_branch .LBB0_2
.LBB0_8:
	v_mov_b32_e32 v101, v2
	v_mov_b32_e32 v105, v6
	;; [unrolled: 1-line block ×4, first 2 shown]
.LBB0_9:
	s_load_dwordx2 s[0:1], s[4:5], 0x28
	v_mul_hi_u32 v3, 0x253c826, v0
	s_lshl_b64 s[4:5], s[14:15], 3
                                        ; implicit-def: $vgpr102
	s_add_u32 s2, s18, s4
	s_addc_u32 s3, s19, s5
	s_waitcnt lgkmcnt(0)
	v_cmp_gt_u64_e32 vcc_lo, s[0:1], v[104:105]
	v_cmp_le_u64_e64 s0, s[0:1], v[104:105]
	s_and_saveexec_b32 s1, s0
	s_xor_b32 s0, exec_lo, s1
; %bb.10:
	v_mul_u32_u24_e32 v1, 0x6e, v3
                                        ; implicit-def: $vgpr3
	v_sub_nc_u32_e32 v102, v0, v1
                                        ; implicit-def: $vgpr0
                                        ; implicit-def: $vgpr1_vgpr2
; %bb.11:
	s_or_saveexec_b32 s1, s0
	s_load_dwordx2 s[2:3], s[2:3], 0x0
	s_xor_b32 exec_lo, exec_lo, s1
	s_cbranch_execz .LBB0_15
; %bb.12:
	s_add_u32 s4, s16, s4
	s_addc_u32 s5, s17, s5
	v_lshlrev_b64 v[1:2], 4, v[1:2]
	s_load_dwordx2 s[4:5], s[4:5], 0x0
	s_waitcnt lgkmcnt(0)
	v_mul_lo_u32 v6, s5, v104
	v_mul_lo_u32 v7, s4, v105
	v_mad_u64_u32 v[4:5], null, s4, v104, 0
	s_mov_b32 s4, exec_lo
	v_add3_u32 v5, v5, v7, v6
	v_mul_u32_u24_e32 v6, 0x6e, v3
	v_lshlrev_b64 v[3:4], 4, v[4:5]
	v_sub_nc_u32_e32 v102, v0, v6
	v_lshlrev_b32_e32 v62, 4, v102
	v_add_co_u32 v0, s0, s8, v3
	v_add_co_ci_u32_e64 v3, s0, s9, v4, s0
	v_add_co_u32 v0, s0, v0, v1
	v_add_co_ci_u32_e64 v1, s0, v3, v2, s0
	;; [unrolled: 2-line block ×3, first 2 shown]
	s_clause 0x1
	global_load_dwordx4 v[2:5], v[10:11], off
	global_load_dwordx4 v[6:9], v[10:11], off offset:1760
	v_add_co_u32 v12, s0, 0x800, v10
	v_add_co_ci_u32_e64 v13, s0, 0, v11, s0
	v_add_co_u32 v14, s0, 0x1000, v10
	v_add_co_ci_u32_e64 v15, s0, 0, v11, s0
	;; [unrolled: 2-line block ×12, first 2 shown]
	s_clause 0xc
	global_load_dwordx4 v[10:13], v[12:13], off offset:1472
	global_load_dwordx4 v[14:17], v[14:15], off offset:1184
	;; [unrolled: 1-line block ×13, first 2 shown]
	v_add_nc_u32_e32 v62, 0, v62
	s_waitcnt vmcnt(14)
	ds_write_b128 v62, v[2:5]
	s_waitcnt vmcnt(13)
	ds_write_b128 v62, v[6:9] offset:1760
	s_waitcnt vmcnt(12)
	ds_write_b128 v62, v[10:13] offset:3520
	;; [unrolled: 2-line block ×14, first 2 shown]
	v_cmpx_eq_u32_e32 0x6d, v102
	s_cbranch_execz .LBB0_14
; %bb.13:
	v_add_co_u32 v0, s0, 0x6000, v0
	v_add_co_ci_u32_e64 v1, s0, 0, v1, s0
	v_mov_b32_e32 v4, 0
	v_mov_b32_e32 v102, 0x6d
	global_load_dwordx4 v[0:3], v[0:1], off offset:1824
	s_waitcnt vmcnt(0)
	ds_write_b128 v4, v[0:3] offset:26400
.LBB0_14:
	s_or_b32 exec_lo, exec_lo, s4
.LBB0_15:
	s_or_b32 exec_lo, exec_lo, s1
	v_lshlrev_b32_e32 v0, 4, v102
	s_waitcnt lgkmcnt(0)
	s_barrier
	buffer_gl0_inv
	s_add_u32 s1, s12, 0x6670
	v_add_nc_u32_e32 v150, 0, v0
	v_sub_nc_u32_e32 v10, 0, v0
	s_addc_u32 s4, s13, 0
	s_mov_b32 s5, exec_lo
                                        ; implicit-def: $vgpr4_vgpr5
	ds_read_b64 v[6:7], v150
	ds_read_b64 v[8:9], v10 offset:26400
	s_waitcnt lgkmcnt(0)
	v_add_f64 v[0:1], v[6:7], v[8:9]
	v_add_f64 v[2:3], v[6:7], -v[8:9]
	v_cmpx_ne_u32_e32 0, v102
	s_xor_b32 s5, exec_lo, s5
	s_cbranch_execz .LBB0_17
; %bb.16:
	v_mov_b32_e32 v103, 0
	v_add_f64 v[13:14], v[6:7], v[8:9]
	v_add_f64 v[15:16], v[6:7], -v[8:9]
	v_lshlrev_b64 v[0:1], 4, v[102:103]
	v_add_co_u32 v0, s0, s1, v0
	v_add_co_ci_u32_e64 v1, s0, s4, v1, s0
	global_load_dwordx4 v[2:5], v[0:1], off
	ds_read_b64 v[0:1], v10 offset:26408
	ds_read_b64 v[11:12], v150 offset:8
	s_waitcnt lgkmcnt(0)
	v_add_f64 v[6:7], v[0:1], v[11:12]
	v_add_f64 v[0:1], v[11:12], -v[0:1]
	s_waitcnt vmcnt(0)
	v_fma_f64 v[8:9], v[15:16], v[4:5], v[13:14]
	v_fma_f64 v[11:12], -v[15:16], v[4:5], v[13:14]
	v_fma_f64 v[13:14], v[6:7], v[4:5], -v[0:1]
	v_fma_f64 v[4:5], v[6:7], v[4:5], v[0:1]
	v_fma_f64 v[0:1], -v[6:7], v[2:3], v[8:9]
	v_fma_f64 v[6:7], v[6:7], v[2:3], v[11:12]
	v_fma_f64 v[8:9], v[15:16], v[2:3], v[13:14]
	;; [unrolled: 1-line block ×3, first 2 shown]
	v_mov_b32_e32 v4, v102
	v_mov_b32_e32 v5, v103
	ds_write_b128 v10, v[6:9] offset:26400
.LBB0_17:
	s_andn2_saveexec_b32 s0, s5
	s_cbranch_execz .LBB0_19
; %bb.18:
	v_mov_b32_e32 v8, 0
	ds_read_b128 v[4:7], v8 offset:13200
	s_waitcnt lgkmcnt(0)
	v_add_f64 v[11:12], v[4:5], v[4:5]
	v_mul_f64 v[13:14], v[6:7], -2.0
	v_mov_b32_e32 v4, 0
	v_mov_b32_e32 v5, 0
	ds_write_b128 v8, v[11:14] offset:13200
.LBB0_19:
	s_or_b32 exec_lo, exec_lo, s0
	v_lshlrev_b64 v[4:5], 4, v[4:5]
	ds_write_b128 v150, v[0:3]
	v_add_co_u32 v4, s0, s1, v4
	v_add_co_ci_u32_e64 v5, s0, s4, v5, s0
	v_add_co_u32 v11, s0, 0x800, v4
	global_load_dwordx4 v[6:9], v[4:5], off offset:1760
	v_add_co_ci_u32_e64 v12, s0, 0, v5, s0
	v_add_co_u32 v15, s0, 0x1000, v4
	v_add_co_ci_u32_e64 v16, s0, 0, v5, s0
	global_load_dwordx4 v[11:14], v[11:12], off offset:1472
	v_add_co_u32 v23, s0, 0x1800, v4
	global_load_dwordx4 v[15:18], v[15:16], off offset:1184
	v_add_co_ci_u32_e64 v24, s0, 0, v5, s0
	ds_read_b128 v[0:3], v150 offset:1760
	ds_read_b128 v[19:22], v10 offset:24640
	global_load_dwordx4 v[23:26], v[23:24], off offset:896
	s_waitcnt lgkmcnt(0)
	v_add_f64 v[27:28], v[0:1], v[19:20]
	v_add_f64 v[29:30], v[21:22], v[2:3]
	v_add_f64 v[31:32], v[0:1], -v[19:20]
	v_add_f64 v[0:1], v[2:3], -v[21:22]
	s_waitcnt vmcnt(3)
	v_fma_f64 v[2:3], v[31:32], v[8:9], v[27:28]
	v_fma_f64 v[19:20], v[29:30], v[8:9], v[0:1]
	v_fma_f64 v[21:22], -v[31:32], v[8:9], v[27:28]
	v_fma_f64 v[8:9], v[29:30], v[8:9], -v[0:1]
	v_add_co_u32 v27, s0, 0x2000, v4
	v_add_co_ci_u32_e64 v28, s0, 0, v5, s0
	v_fma_f64 v[0:1], -v[29:30], v[6:7], v[2:3]
	v_fma_f64 v[2:3], v[31:32], v[6:7], v[19:20]
	v_fma_f64 v[19:20], v[29:30], v[6:7], v[21:22]
	;; [unrolled: 1-line block ×3, first 2 shown]
	ds_write_b128 v150, v[0:3] offset:1760
	ds_write_b128 v10, v[19:22] offset:24640
	ds_read_b128 v[0:3], v150 offset:3520
	ds_read_b128 v[6:9], v10 offset:22880
	global_load_dwordx4 v[19:22], v[27:28], off offset:608
	s_waitcnt lgkmcnt(0)
	v_add_f64 v[27:28], v[0:1], v[6:7]
	v_add_f64 v[29:30], v[8:9], v[2:3]
	v_add_f64 v[31:32], v[0:1], -v[6:7]
	v_add_f64 v[0:1], v[2:3], -v[8:9]
	s_waitcnt vmcnt(3)
	v_fma_f64 v[2:3], v[31:32], v[13:14], v[27:28]
	v_fma_f64 v[6:7], v[29:30], v[13:14], v[0:1]
	v_fma_f64 v[8:9], -v[31:32], v[13:14], v[27:28]
	v_fma_f64 v[13:14], v[29:30], v[13:14], -v[0:1]
	v_fma_f64 v[0:1], -v[29:30], v[11:12], v[2:3]
	v_fma_f64 v[2:3], v[31:32], v[11:12], v[6:7]
	v_fma_f64 v[6:7], v[29:30], v[11:12], v[8:9]
	v_fma_f64 v[8:9], v[31:32], v[11:12], v[13:14]
	v_add_co_u32 v11, s0, 0x2800, v4
	v_add_co_ci_u32_e64 v12, s0, 0, v5, s0
	v_cmp_gt_u32_e64 s0, 55, v102
	ds_write_b128 v150, v[0:3] offset:3520
	ds_write_b128 v10, v[6:9] offset:22880
	ds_read_b128 v[0:3], v150 offset:5280
	ds_read_b128 v[6:9], v10 offset:21120
	global_load_dwordx4 v[11:14], v[11:12], off offset:320
	s_waitcnt lgkmcnt(0)
	v_add_f64 v[27:28], v[0:1], v[6:7]
	v_add_f64 v[29:30], v[8:9], v[2:3]
	v_add_f64 v[31:32], v[0:1], -v[6:7]
	v_add_f64 v[0:1], v[2:3], -v[8:9]
	s_waitcnt vmcnt(3)
	v_fma_f64 v[2:3], v[31:32], v[17:18], v[27:28]
	v_fma_f64 v[6:7], v[29:30], v[17:18], v[0:1]
	v_fma_f64 v[8:9], -v[31:32], v[17:18], v[27:28]
	v_fma_f64 v[17:18], v[29:30], v[17:18], -v[0:1]
	v_fma_f64 v[0:1], -v[29:30], v[15:16], v[2:3]
	v_fma_f64 v[2:3], v[31:32], v[15:16], v[6:7]
	v_fma_f64 v[6:7], v[29:30], v[15:16], v[8:9]
	v_fma_f64 v[8:9], v[31:32], v[15:16], v[17:18]
	ds_write_b128 v150, v[0:3] offset:5280
	ds_write_b128 v10, v[6:9] offset:21120
	ds_read_b128 v[0:3], v150 offset:7040
	ds_read_b128 v[6:9], v10 offset:19360
	s_waitcnt lgkmcnt(0)
	v_add_f64 v[15:16], v[0:1], v[6:7]
	v_add_f64 v[17:18], v[8:9], v[2:3]
	v_add_f64 v[27:28], v[0:1], -v[6:7]
	v_add_f64 v[0:1], v[2:3], -v[8:9]
	s_waitcnt vmcnt(2)
	v_fma_f64 v[2:3], v[27:28], v[25:26], v[15:16]
	v_fma_f64 v[6:7], v[17:18], v[25:26], v[0:1]
	v_fma_f64 v[8:9], -v[27:28], v[25:26], v[15:16]
	v_fma_f64 v[15:16], v[17:18], v[25:26], -v[0:1]
	v_fma_f64 v[0:1], -v[17:18], v[23:24], v[2:3]
	v_fma_f64 v[2:3], v[27:28], v[23:24], v[6:7]
	v_fma_f64 v[6:7], v[17:18], v[23:24], v[8:9]
	v_fma_f64 v[8:9], v[27:28], v[23:24], v[15:16]
	ds_write_b128 v150, v[0:3] offset:7040
	ds_write_b128 v10, v[6:9] offset:19360
	ds_read_b128 v[0:3], v150 offset:8800
	ds_read_b128 v[6:9], v10 offset:17600
	;; [unrolled: 18-line block ×3, first 2 shown]
	s_waitcnt lgkmcnt(0)
	v_add_f64 v[15:16], v[0:1], v[6:7]
	v_add_f64 v[17:18], v[8:9], v[2:3]
	v_add_f64 v[19:20], v[0:1], -v[6:7]
	v_add_f64 v[0:1], v[2:3], -v[8:9]
	s_waitcnt vmcnt(0)
	v_fma_f64 v[2:3], v[19:20], v[13:14], v[15:16]
	v_fma_f64 v[6:7], v[17:18], v[13:14], v[0:1]
	v_fma_f64 v[8:9], -v[19:20], v[13:14], v[15:16]
	v_fma_f64 v[13:14], v[17:18], v[13:14], -v[0:1]
	v_fma_f64 v[0:1], -v[17:18], v[11:12], v[2:3]
	v_fma_f64 v[2:3], v[19:20], v[11:12], v[6:7]
	v_fma_f64 v[6:7], v[17:18], v[11:12], v[8:9]
	;; [unrolled: 1-line block ×3, first 2 shown]
	ds_write_b128 v150, v[0:3] offset:10560
	ds_write_b128 v10, v[6:9] offset:15840
	s_and_saveexec_b32 s4, s0
	s_cbranch_execz .LBB0_21
; %bb.20:
	v_add_co_u32 v0, s1, 0x3000, v4
	v_add_co_ci_u32_e64 v1, s1, 0, v5, s1
	global_load_dwordx4 v[0:3], v[0:1], off offset:32
	ds_read_b128 v[4:7], v150 offset:12320
	ds_read_b128 v[11:14], v10 offset:14080
	s_waitcnt lgkmcnt(0)
	v_add_f64 v[8:9], v[4:5], v[11:12]
	v_add_f64 v[15:16], v[13:14], v[6:7]
	v_add_f64 v[11:12], v[4:5], -v[11:12]
	v_add_f64 v[4:5], v[6:7], -v[13:14]
	s_waitcnt vmcnt(0)
	v_fma_f64 v[6:7], v[11:12], v[2:3], v[8:9]
	v_fma_f64 v[13:14], v[15:16], v[2:3], v[4:5]
	v_fma_f64 v[8:9], -v[11:12], v[2:3], v[8:9]
	v_fma_f64 v[17:18], v[15:16], v[2:3], -v[4:5]
	v_fma_f64 v[2:3], -v[15:16], v[0:1], v[6:7]
	v_fma_f64 v[4:5], v[11:12], v[0:1], v[13:14]
	v_fma_f64 v[6:7], v[15:16], v[0:1], v[8:9]
	;; [unrolled: 1-line block ×3, first 2 shown]
	ds_write_b128 v150, v[2:5] offset:12320
	ds_write_b128 v10, v[6:9] offset:14080
.LBB0_21:
	s_or_b32 exec_lo, exec_lo, s4
	s_waitcnt lgkmcnt(0)
	s_barrier
	buffer_gl0_inv
	s_barrier
	buffer_gl0_inv
	ds_read_b128 v[48:51], v150 offset:2400
	ds_read_b128 v[44:47], v150
	ds_read_b128 v[0:3], v150 offset:1760
	ds_read_b128 v[16:19], v150 offset:4160
	;; [unrolled: 1-line block ×10, first 2 shown]
	s_mov_b32 s4, 0xf8bb580b
	s_mov_b32 s26, 0x8eee2c13
	;; [unrolled: 1-line block ×16, first 2 shown]
	s_waitcnt lgkmcnt(10)
	v_add_f64 v[4:5], v[44:45], v[48:49]
	v_add_f64 v[6:7], v[46:47], v[50:51]
	s_mov_b32 s29, 0x3fd207e7
	s_mov_b32 s28, s14
	s_mov_b32 s22, 0x640f44db
	s_mov_b32 s8, 0x9bcd5057
	s_mov_b32 s23, 0xbfc2375f
	s_mov_b32 s9, 0xbfeeb42a
	s_mov_b32 s31, 0x3fefac9e
	s_mov_b32 s35, 0x3fed1bb4
	s_mov_b32 s30, s16
	s_mov_b32 s34, s26
	s_mov_b32 s37, 0x3fe14ced
	s_mov_b32 s36, s4
	v_mad_u32_u24 v103, 0xb0, v102, 0
	s_mov_b32 s33, exec_lo
	s_waitcnt lgkmcnt(7)
	v_add_f64 v[72:73], v[4:5], v[56:57]
	v_add_f64 v[74:75], v[6:7], v[58:59]
	ds_read_b128 v[52:55], v150 offset:14400
	ds_read_b128 v[4:7], v150 offset:16160
	;; [unrolled: 1-line block ×10, first 2 shown]
	s_waitcnt lgkmcnt(0)
	s_barrier
	buffer_gl0_inv
	v_add_f64 v[80:81], v[64:65], -v[52:53]
	v_add_f64 v[82:83], v[66:67], -v[54:55]
	v_add_f64 v[96:97], v[70:71], -v[108:109]
	v_add_f64 v[126:127], v[60:61], -v[110:111]
	v_add_f64 v[88:89], v[60:61], v[110:111]
	v_add_f64 v[98:99], v[58:59], -v[116:117]
	v_add_f64 v[122:123], v[56:57], -v[114:115]
	;; [unrolled: 1-line block ×3, first 2 shown]
	v_add_f64 v[76:77], v[72:73], v[60:61]
	v_add_f64 v[78:79], v[74:75], v[62:63]
	v_add_f64 v[90:91], v[48:49], -v[118:119]
	v_add_f64 v[60:61], v[48:49], v[118:119]
	v_add_f64 v[130:131], v[50:51], v[120:121]
	v_add_f64 v[124:125], v[62:63], -v[112:113]
	v_add_f64 v[48:49], v[62:63], v[112:113]
	v_add_f64 v[86:87], v[58:59], v[116:117]
	;; [unrolled: 1-line block ×4, first 2 shown]
	v_mul_f64 v[159:160], v[80:81], s[14:15]
	v_mul_f64 v[155:156], v[82:83], s[14:15]
	;; [unrolled: 1-line block ×9, first 2 shown]
	v_add_f64 v[92:93], v[76:77], v[68:69]
	v_add_f64 v[94:95], v[78:79], v[70:71]
	;; [unrolled: 1-line block ×3, first 2 shown]
	v_mul_f64 v[132:133], v[90:91], s[4:5]
	v_add_f64 v[70:71], v[56:57], v[114:115]
	v_mul_f64 v[56:57], v[84:85], s[26:27]
	v_mul_f64 v[163:164], v[98:99], s[20:21]
	v_add_f64 v[76:77], v[68:69], v[106:107]
	v_add_f64 v[68:69], v[68:69], -v[106:107]
	v_mul_f64 v[58:59], v[84:85], s[16:17]
	v_mul_f64 v[134:135], v[90:91], s[16:17]
	;; [unrolled: 1-line block ×11, first 2 shown]
	v_fma_f64 v[179:180], v[86:87], s[24:25], v[142:143]
	v_fma_f64 v[153:154], v[60:61], s[6:7], -v[128:129]
	v_add_f64 v[50:51], v[92:93], v[64:65]
	v_add_f64 v[62:63], v[94:95], v[66:67]
	v_fma_f64 v[128:129], v[60:61], s[6:7], v[128:129]
	v_fma_f64 v[157:158], v[130:131], s[6:7], v[132:133]
	v_mul_f64 v[64:65], v[84:85], s[20:21]
	v_fma_f64 v[171:172], v[60:61], s[24:25], -v[56:57]
	v_mul_f64 v[66:67], v[84:85], s[14:15]
	v_mul_f64 v[84:85], v[90:91], s[26:27]
	;; [unrolled: 1-line block ×3, first 2 shown]
	v_fma_f64 v[132:133], v[130:131], s[6:7], -v[132:133]
	v_fma_f64 v[177:178], v[70:71], s[24:25], -v[140:141]
	v_fma_f64 v[140:141], v[70:71], s[24:25], v[140:141]
	v_fma_f64 v[187:188], v[70:71], s[18:19], -v[163:164]
	v_mul_f64 v[151:152], v[68:69], s[20:21]
	v_fma_f64 v[56:57], v[60:61], s[24:25], v[56:57]
	v_fma_f64 v[142:143], v[86:87], s[24:25], -v[142:143]
	v_mul_f64 v[94:95], v[126:127], s[28:29]
	v_mul_f64 v[90:91], v[68:69], s[30:31]
	v_mul_f64 v[175:176], v[68:69], s[4:5]
	v_add_f64 v[153:154], v[44:45], v[153:154]
	v_add_f64 v[52:53], v[50:51], v[52:53]
	;; [unrolled: 1-line block ×5, first 2 shown]
	v_mul_f64 v[62:63], v[98:99], s[28:29]
	v_add_f64 v[171:172], v[44:45], v[171:172]
	v_fma_f64 v[189:190], v[60:61], s[8:9], -v[66:67]
	v_fma_f64 v[185:186], v[130:131], s[24:25], v[84:85]
	v_mul_f64 v[50:51], v[96:97], s[30:31]
	v_add_f64 v[132:133], v[46:47], v[132:133]
	v_fma_f64 v[84:85], v[130:131], s[24:25], -v[84:85]
	v_mul_f64 v[98:99], v[98:99], s[36:37]
	v_add_f64 v[193:194], v[44:45], v[56:57]
	v_add_f64 v[153:154], v[177:178], v[153:154]
	v_add_f64 v[52:53], v[52:53], v[106:107]
	v_add_f64 v[54:55], v[54:55], v[108:109]
	v_fma_f64 v[106:107], v[60:61], s[22:23], -v[58:59]
	v_fma_f64 v[58:59], v[60:61], s[22:23], v[58:59]
	v_fma_f64 v[108:109], v[60:61], s[18:19], -v[64:65]
	v_fma_f64 v[64:65], v[60:61], s[18:19], v[64:65]
	v_fma_f64 v[60:61], v[60:61], s[8:9], v[66:67]
	v_fma_f64 v[66:67], v[88:89], s[22:23], -v[144:145]
	v_fma_f64 v[177:178], v[48:49], s[22:23], v[146:147]
	v_add_f64 v[157:158], v[179:180], v[157:158]
	v_fma_f64 v[144:145], v[88:89], s[22:23], v[144:145]
	v_add_f64 v[128:129], v[140:141], v[128:129]
	v_fma_f64 v[140:141], v[130:131], s[22:23], v[134:135]
	v_add_f64 v[171:172], v[187:188], v[171:172]
	v_fma_f64 v[187:188], v[88:89], s[8:9], -v[92:93]
	v_add_f64 v[185:186], v[46:47], v[185:186]
	v_add_f64 v[132:133], v[142:143], v[132:133]
	v_fma_f64 v[142:143], v[130:131], s[8:9], v[138:139]
	v_fma_f64 v[146:147], v[48:49], s[22:23], -v[146:147]
	v_mul_f64 v[179:180], v[124:125], s[4:5]
	v_fma_f64 v[191:192], v[70:71], s[8:9], v[62:63]
	v_add_f64 v[195:196], v[46:47], v[84:85]
	v_add_f64 v[52:53], v[52:53], v[110:111]
	;; [unrolled: 1-line block ×3, first 2 shown]
	v_fma_f64 v[110:111], v[130:131], s[22:23], -v[134:135]
	v_fma_f64 v[112:113], v[130:131], s[18:19], v[136:137]
	v_fma_f64 v[134:135], v[130:131], s[18:19], -v[136:137]
	v_fma_f64 v[136:137], v[86:87], s[18:19], v[165:166]
	v_fma_f64 v[130:131], v[130:131], s[8:9], -v[138:139]
	v_fma_f64 v[138:139], v[76:77], s[18:19], -v[148:149]
	v_add_f64 v[66:67], v[66:67], v[153:154]
	v_fma_f64 v[153:154], v[78:79], s[18:19], v[151:152]
	v_add_f64 v[157:158], v[177:178], v[157:158]
	v_fma_f64 v[148:149], v[76:77], s[18:19], v[148:149]
	v_add_f64 v[128:129], v[144:145], v[128:129]
	v_fma_f64 v[144:145], v[70:71], s[8:9], -v[62:63]
	v_add_f64 v[106:107], v[44:45], v[106:107]
	v_add_f64 v[171:172], v[187:188], v[171:172]
	v_fma_f64 v[187:188], v[86:87], s[8:9], v[161:162]
	v_add_f64 v[140:141], v[46:47], v[140:141]
	v_fma_f64 v[151:152], v[78:79], s[18:19], -v[151:152]
	v_add_f64 v[132:133], v[146:147], v[132:133]
	v_fma_f64 v[146:147], v[76:77], s[22:23], -v[50:51]
	v_fma_f64 v[161:162], v[86:87], s[8:9], -v[161:162]
	v_add_f64 v[114:115], v[52:53], v[114:115]
	v_add_f64 v[54:55], v[54:55], v[116:117]
	v_fma_f64 v[52:53], v[72:73], s[8:9], -v[155:156]
	v_fma_f64 v[116:117], v[74:75], s[8:9], v[159:160]
	v_fma_f64 v[155:156], v[72:73], s[8:9], v[155:156]
	v_add_f64 v[136:137], v[136:137], v[185:186]
	v_fma_f64 v[185:186], v[48:49], s[8:9], v[94:95]
	v_add_f64 v[84:85], v[44:45], v[58:59]
	v_add_f64 v[66:67], v[138:139], v[66:67]
	v_fma_f64 v[138:139], v[88:89], s[24:25], -v[167:168]
	v_add_f64 v[153:154], v[153:154], v[157:158]
	v_fma_f64 v[157:158], v[48:49], s[24:25], v[169:170]
	v_add_f64 v[62:63], v[148:149], v[128:129]
	v_fma_f64 v[128:129], v[70:71], s[22:23], -v[181:182]
	v_add_f64 v[106:107], v[144:145], v[106:107]
	v_add_f64 v[110:111], v[46:47], v[110:111]
	;; [unrolled: 1-line block ×4, first 2 shown]
	v_mul_f64 v[177:178], v[126:127], s[4:5]
	v_fma_f64 v[159:160], v[74:75], s[8:9], -v[159:160]
	v_fma_f64 v[144:145], v[86:87], s[22:23], v[183:184]
	v_add_f64 v[112:113], v[46:47], v[112:113]
	v_add_f64 v[64:65], v[44:45], v[64:65]
	;; [unrolled: 1-line block ×15, first 2 shown]
	v_fma_f64 v[54:55], v[78:79], s[22:23], v[90:91]
	v_mul_f64 v[114:115], v[82:83], s[36:37]
	v_mul_f64 v[116:117], v[80:81], s[36:37]
	v_add_f64 v[66:67], v[191:192], v[84:85]
	v_fma_f64 v[84:85], v[88:89], s[24:25], v[167:168]
	v_add_f64 v[110:111], v[161:162], v[110:111]
	v_fma_f64 v[118:119], v[48:49], s[24:25], -v[169:170]
	v_add_f64 v[106:107], v[138:139], v[106:107]
	v_fma_f64 v[120:121], v[76:77], s[6:7], -v[173:174]
	v_fma_f64 v[138:139], v[70:71], s[22:23], v[181:182]
	v_add_f64 v[140:141], v[157:158], v[140:141]
	v_fma_f64 v[146:147], v[86:87], s[22:23], -v[183:184]
	v_fma_f64 v[151:152], v[78:79], s[6:7], v[175:176]
	v_mul_f64 v[153:154], v[82:83], s[20:21]
	v_add_f64 v[108:109], v[128:129], v[108:109]
	v_fma_f64 v[128:129], v[88:89], s[6:7], -v[179:180]
	v_mul_f64 v[155:156], v[96:97], s[14:15]
	v_mul_f64 v[157:158], v[80:81], s[20:21]
	v_add_f64 v[112:113], v[144:145], v[112:113]
	v_fma_f64 v[144:145], v[48:49], s[6:7], v[177:178]
	v_mul_f64 v[161:162], v[68:69], s[14:15]
	v_mul_f64 v[171:172], v[82:83], s[34:35]
	v_add_f64 v[130:131], v[54:55], v[130:131]
	v_fma_f64 v[167:168], v[72:73], s[6:7], -v[114:115]
	v_fma_f64 v[169:170], v[74:75], s[6:7], v[116:117]
	v_add_f64 v[54:55], v[159:160], v[132:133]
	v_add_f64 v[66:67], v[84:85], v[66:67]
	v_fma_f64 v[84:85], v[76:77], s[6:7], v[173:174]
	v_add_f64 v[110:111], v[118:119], v[110:111]
	v_fma_f64 v[118:119], v[78:79], s[6:7], -v[175:176]
	v_add_f64 v[106:107], v[120:121], v[106:107]
	v_add_f64 v[64:65], v[138:139], v[64:65]
	v_fma_f64 v[120:121], v[88:89], s[6:7], v[179:180]
	v_add_f64 v[134:135], v[146:147], v[134:135]
	v_fma_f64 v[138:139], v[48:49], s[6:7], -v[177:178]
	v_add_f64 v[140:141], v[151:152], v[140:141]
	v_fma_f64 v[146:147], v[72:73], s[18:19], -v[153:154]
	;; [unrolled: 2-line block ×3, first 2 shown]
	v_fma_f64 v[173:174], v[74:75], s[18:19], v[157:158]
	v_fma_f64 v[175:176], v[70:71], s[6:7], -v[98:99]
	v_mul_f64 v[124:125], v[124:125], s[20:21]
	v_fma_f64 v[132:133], v[86:87], s[6:7], v[122:123]
	v_mul_f64 v[126:127], v[126:127], s[20:21]
	v_add_f64 v[112:113], v[144:145], v[112:113]
	v_fma_f64 v[144:145], v[78:79], s[8:9], v[161:162]
	v_add_f64 v[151:152], v[167:168], v[136:137]
	v_mul_f64 v[136:137], v[80:81], s[34:35]
	v_fma_f64 v[167:168], v[74:75], s[18:19], -v[157:158]
	v_add_f64 v[66:67], v[84:85], v[66:67]
	v_fma_f64 v[177:178], v[76:77], s[8:9], v[155:156]
	v_add_f64 v[110:111], v[118:119], v[110:111]
	v_fma_f64 v[118:119], v[72:73], s[18:19], v[153:154]
	v_add_f64 v[153:154], v[169:170], v[130:131]
	v_add_f64 v[120:121], v[120:121], v[64:65]
	v_add_f64 v[64:65], v[18:19], -v[30:31]
	v_add_f64 v[134:135], v[138:139], v[134:135]
	v_fma_f64 v[138:139], v[78:79], s[8:9], -v[161:162]
	v_add_f64 v[155:156], v[146:147], v[106:107]
	v_add_f64 v[84:85], v[18:19], v[30:31]
	;; [unrolled: 1-line block ×3, first 2 shown]
	v_fma_f64 v[108:109], v[72:73], s[24:25], -v[171:172]
	v_add_f64 v[157:158], v[173:174], v[140:141]
	v_add_f64 v[130:131], v[175:176], v[148:149]
	v_fma_f64 v[140:141], v[88:89], s[18:19], -v[124:125]
	v_add_f64 v[132:133], v[132:133], v[142:143]
	v_mul_f64 v[142:143], v[96:97], s[34:35]
	v_fma_f64 v[96:97], v[48:49], s[18:19], v[126:127]
	v_mul_f64 v[173:174], v[68:69], s[34:35]
	v_add_f64 v[128:129], v[144:145], v[112:113]
	v_fma_f64 v[144:145], v[74:75], s[24:25], v[136:137]
	v_fma_f64 v[98:99], v[70:71], s[6:7], v[98:99]
	v_fma_f64 v[122:123], v[86:87], s[6:7], -v[122:123]
	v_add_f64 v[161:162], v[167:168], v[110:111]
	v_add_f64 v[159:160], v[118:119], v[66:67]
	v_fma_f64 v[118:119], v[72:73], s[24:25], v[171:172]
	v_add_f64 v[110:111], v[177:178], v[120:121]
	v_add_f64 v[66:67], v[16:17], v[28:29]
	v_add_f64 v[68:69], v[16:17], -v[28:29]
	v_add_f64 v[120:121], v[138:139], v[134:135]
	v_fma_f64 v[134:135], v[74:75], s[24:25], -v[136:137]
	v_fma_f64 v[136:137], v[70:71], s[18:19], v[163:164]
	v_fma_f64 v[138:139], v[86:87], s[18:19], -v[165:166]
	v_add_f64 v[163:164], v[108:109], v[106:107]
	v_mul_f64 v[106:107], v[64:65], s[16:17]
	v_add_f64 v[70:71], v[26:27], -v[34:35]
	v_mul_f64 v[112:113], v[84:85], s[22:23]
	v_add_f64 v[108:109], v[140:141], v[130:131]
	v_add_f64 v[86:87], v[26:27], v[34:35]
	v_fma_f64 v[130:131], v[76:77], s[24:25], -v[142:143]
	v_add_f64 v[96:97], v[96:97], v[132:133]
	v_fma_f64 v[132:133], v[78:79], s[24:25], v[173:174]
	v_mul_f64 v[146:147], v[64:65], s[20:21]
	v_mul_f64 v[148:149], v[84:85], s[18:19]
	v_add_f64 v[165:166], v[144:145], v[128:129]
	v_add_f64 v[44:45], v[98:99], v[44:45]
	;; [unrolled: 1-line block ×3, first 2 shown]
	v_fma_f64 v[98:99], v[88:89], s[18:19], v[124:125]
	v_fma_f64 v[124:125], v[48:49], s[18:19], -v[126:127]
	v_add_f64 v[167:168], v[118:119], v[110:111]
	v_fma_f64 v[126:127], v[88:89], s[8:9], v[92:93]
	v_fma_f64 v[48:49], v[48:49], s[8:9], -v[94:95]
	v_add_f64 v[169:170], v[134:135], v[120:121]
	v_add_f64 v[110:111], v[136:137], v[193:194]
	;; [unrolled: 1-line block ×4, first 2 shown]
	v_fma_f64 v[128:129], v[66:67], s[22:23], -v[106:107]
	v_mul_f64 v[118:119], v[70:71], s[28:29]
	v_fma_f64 v[134:135], v[68:69], s[16:17], v[112:113]
	v_add_f64 v[92:93], v[24:25], -v[32:33]
	v_mul_f64 v[122:123], v[86:87], s[8:9]
	v_add_f64 v[171:172], v[130:131], v[108:109]
	v_add_f64 v[94:95], v[22:23], -v[38:39]
	v_add_f64 v[175:176], v[132:133], v[96:97]
	v_add_f64 v[96:97], v[22:23], v[38:39]
	v_fma_f64 v[108:109], v[66:67], s[18:19], -v[146:147]
	v_mul_f64 v[140:141], v[70:71], s[30:31]
	v_fma_f64 v[130:131], v[68:69], s[20:21], v[148:149]
	v_mul_f64 v[144:145], v[86:87], s[22:23]
	v_mul_f64 v[82:83], v[82:83], s[16:17]
	;; [unrolled: 1-line block ×3, first 2 shown]
	v_add_f64 v[44:45], v[98:99], v[44:45]
	v_add_f64 v[46:47], v[124:125], v[46:47]
	v_fma_f64 v[136:137], v[76:77], s[24:25], v[142:143]
	v_fma_f64 v[142:143], v[78:79], s[24:25], -v[173:174]
	v_add_f64 v[110:111], v[126:127], v[110:111]
	v_add_f64 v[48:49], v[48:49], v[120:121]
	v_fma_f64 v[50:51], v[76:77], s[22:23], v[50:51]
	v_fma_f64 v[126:127], v[78:79], s[22:23], -v[90:91]
	v_add_f64 v[128:129], v[0:1], v[128:129]
	v_fma_f64 v[173:174], v[88:89], s[8:9], -v[118:119]
	v_add_f64 v[134:135], v[2:3], v[134:135]
	v_fma_f64 v[177:178], v[92:93], s[28:29], v[122:123]
	v_add_f64 v[76:77], v[20:21], v[36:37]
	v_mul_f64 v[120:121], v[94:95], s[34:35]
	v_add_f64 v[78:79], v[20:21], -v[36:37]
	v_mul_f64 v[124:125], v[96:97], s[24:25]
	v_add_f64 v[90:91], v[14:15], -v[42:43]
	v_add_f64 v[98:99], v[14:15], v[42:43]
	v_add_f64 v[183:184], v[0:1], v[108:109]
	v_fma_f64 v[185:186], v[88:89], s[22:23], -v[140:141]
	v_add_f64 v[130:131], v[2:3], v[130:131]
	v_fma_f64 v[187:188], v[92:93], s[30:31], v[144:145]
	v_mul_f64 v[132:133], v[94:95], s[4:5]
	v_mul_f64 v[138:139], v[96:97], s[6:7]
	v_fma_f64 v[179:180], v[72:73], s[22:23], -v[82:83]
	v_fma_f64 v[181:182], v[74:75], s[22:23], v[80:81]
	v_add_f64 v[44:45], v[136:137], v[44:45]
	v_add_f64 v[46:47], v[142:143], v[46:47]
	v_fma_f64 v[82:83], v[72:73], s[22:23], v[82:83]
	v_fma_f64 v[142:143], v[74:75], s[22:23], -v[80:81]
	v_add_f64 v[50:51], v[50:51], v[110:111]
	v_add_f64 v[48:49], v[126:127], v[48:49]
	v_fma_f64 v[114:115], v[72:73], s[6:7], v[114:115]
	v_fma_f64 v[74:75], v[74:75], s[6:7], -v[116:117]
	v_add_f64 v[116:117], v[173:174], v[128:129]
	v_add_f64 v[134:135], v[177:178], v[134:135]
	v_fma_f64 v[189:190], v[76:77], s[24:25], -v[120:121]
	v_fma_f64 v[191:192], v[78:79], s[34:35], v[124:125]
	v_add_f64 v[72:73], v[12:13], v[40:41]
	v_mul_f64 v[126:127], v[90:91], s[4:5]
	v_add_f64 v[80:81], v[12:13], -v[40:41]
	v_mul_f64 v[128:129], v[98:99], s[6:7]
	v_add_f64 v[108:109], v[10:11], -v[6:7]
	v_add_f64 v[110:111], v[10:11], v[6:7]
	v_add_f64 v[183:184], v[185:186], v[183:184]
	;; [unrolled: 1-line block ×3, first 2 shown]
	v_fma_f64 v[187:188], v[76:77], s[6:7], -v[132:133]
	v_fma_f64 v[193:194], v[78:79], s[4:5], v[138:139]
	v_mul_f64 v[130:131], v[90:91], s[14:15]
	v_mul_f64 v[136:137], v[98:99], s[8:9]
	v_add_f64 v[171:172], v[179:180], v[171:172]
	v_add_f64 v[173:174], v[181:182], v[175:176]
	;; [unrolled: 1-line block ×7, first 2 shown]
	v_add_f64 v[82:83], v[8:9], -v[4:5]
	v_add_f64 v[44:45], v[189:190], v[116:117]
	v_add_f64 v[46:47], v[191:192], v[134:135]
	ds_write_b128 v103, v[60:63]
	ds_write_b128 v103, v[56:59] offset:16
	ds_write_b128 v103, v[151:154] offset:32
	;; [unrolled: 1-line block ×10, first 2 shown]
	v_fma_f64 v[48:49], v[72:73], s[6:7], -v[126:127]
	v_fma_f64 v[50:51], v[80:81], s[4:5], v[128:129]
	v_mul_f64 v[114:115], v[108:109], s[20:21]
	v_mul_f64 v[116:117], v[110:111], s[18:19]
	v_add_f64 v[183:184], v[187:188], v[183:184]
	v_add_f64 v[185:186], v[193:194], v[185:186]
	v_fma_f64 v[187:188], v[72:73], s[8:9], -v[130:131]
	v_fma_f64 v[189:190], v[80:81], s[14:15], v[136:137]
	v_mul_f64 v[134:135], v[108:109], s[34:35]
	v_mul_f64 v[142:143], v[110:111], s[24:25]
	v_add_f64 v[44:45], v[48:49], v[44:45]
	v_add_f64 v[46:47], v[50:51], v[46:47]
	v_fma_f64 v[48:49], v[74:75], s[18:19], -v[114:115]
	v_fma_f64 v[50:51], v[82:83], s[20:21], v[116:117]
	v_add_f64 v[183:184], v[187:188], v[183:184]
	v_add_f64 v[185:186], v[189:190], v[185:186]
	v_fma_f64 v[187:188], v[74:75], s[24:25], -v[134:135]
	v_fma_f64 v[189:190], v[82:83], s[34:35], v[142:143]
	v_add_f64 v[44:45], v[48:49], v[44:45]
	v_add_f64 v[46:47], v[50:51], v[46:47]
	;; [unrolled: 1-line block ×4, first 2 shown]
	v_cmpx_gt_u32_e32 40, v102
	s_cbranch_execz .LBB0_23
; %bb.22:
	v_mul_f64 v[54:55], v[64:65], s[14:15]
	v_mul_f64 v[56:57], v[68:69], s[20:21]
	;; [unrolled: 1-line block ×3, first 2 shown]
	v_add_f64 v[18:19], v[2:3], v[18:19]
	v_add_f64 v[16:17], v[0:1], v[16:17]
	v_mul_f64 v[52:53], v[84:85], s[8:9]
	v_mul_f64 v[155:156], v[88:89], s[22:23]
	;; [unrolled: 1-line block ×14, first 2 shown]
	s_mov_b32 s39, 0x3fe82f19
	s_mov_b32 s38, s20
	v_mul_f64 v[161:162], v[76:77], s[24:25]
	v_fma_f64 v[171:172], v[66:67], s[8:9], v[54:55]
	v_fma_f64 v[54:55], v[66:67], s[8:9], -v[54:55]
	v_add_f64 v[56:57], v[148:149], -v[56:57]
	v_add_f64 v[58:59], v[58:59], v[146:147]
	v_add_f64 v[18:19], v[18:19], v[26:27]
	;; [unrolled: 1-line block ×3, first 2 shown]
	v_fma_f64 v[169:170], v[68:69], s[28:29], v[52:53]
	v_fma_f64 v[52:53], v[68:69], s[14:15], v[52:53]
	v_mul_f64 v[146:147], v[78:79], s[4:5]
	v_add_f64 v[144:145], v[144:145], -v[157:158]
	v_add_f64 v[140:141], v[155:156], v[140:141]
	v_fma_f64 v[155:156], v[88:89], s[6:7], v[163:164]
	v_fma_f64 v[163:164], v[88:89], s[6:7], -v[163:164]
	v_fma_f64 v[157:158], v[92:93], s[4:5], v[159:160]
	v_fma_f64 v[159:160], v[92:93], s[36:37], v[159:160]
	v_mul_f64 v[24:25], v[90:91], s[34:35]
	v_add_f64 v[62:63], v[112:113], -v[62:63]
	v_add_f64 v[60:61], v[60:61], v[106:107]
	v_add_f64 v[112:113], v[167:168], v[132:133]
	v_fma_f64 v[167:168], v[76:77], s[18:19], -v[183:184]
	v_mul_f64 v[165:166], v[78:79], s[34:35]
	v_mul_f64 v[187:188], v[74:75], s[24:25]
	v_add_f64 v[171:172], v[0:1], v[171:172]
	v_add_f64 v[54:55], v[0:1], v[54:55]
	;; [unrolled: 1-line block ×8, first 2 shown]
	v_add_f64 v[106:107], v[138:139], -v[146:147]
	v_mul_f64 v[191:192], v[98:99], s[24:25]
	v_fma_f64 v[132:133], v[78:79], s[38:39], v[181:182]
	v_fma_f64 v[138:139], v[76:77], s[18:19], v[183:184]
	v_add_f64 v[122:123], v[122:123], -v[153:154]
	v_add_f64 v[118:119], v[151:152], v[118:119]
	v_add_f64 v[136:137], v[136:137], -v[177:178]
	v_add_f64 v[130:131], v[175:176], v[130:131]
	v_add_f64 v[62:63], v[2:3], v[62:63]
	;; [unrolled: 1-line block ×3, first 2 shown]
	v_mul_f64 v[148:149], v[72:73], s[6:7]
	v_mul_f64 v[20:21], v[70:71], s[20:21]
	v_add_f64 v[120:121], v[161:162], v[120:121]
	v_mul_f64 v[70:71], v[70:71], s[26:27]
	v_add_f64 v[155:156], v[155:156], v[171:172]
	v_add_f64 v[54:55], v[163:164], v[54:55]
	;; [unrolled: 1-line block ×8, first 2 shown]
	v_mul_f64 v[159:160], v[84:85], s[24:25]
	v_fma_f64 v[163:164], v[72:73], s[24:25], v[24:25]
	v_fma_f64 v[24:25], v[72:73], s[24:25], -v[24:25]
	v_mul_f64 v[84:85], v[84:85], s[6:7]
	v_mul_f64 v[144:145], v[86:87], s[18:19]
	v_fma_f64 v[22:23], v[80:81], s[26:27], v[191:192]
	v_fma_f64 v[146:147], v[78:79], s[20:21], v[181:182]
	v_mul_f64 v[173:174], v[80:81], s[4:5]
	v_add_f64 v[62:63], v[122:123], v[62:63]
	v_add_f64 v[60:61], v[118:119], v[60:61]
	;; [unrolled: 1-line block ×3, first 2 shown]
	v_mul_f64 v[26:27], v[110:111], s[22:23]
	v_mul_f64 v[140:141], v[108:109], s[16:17]
	v_fma_f64 v[153:154], v[80:81], s[34:35], v[191:192]
	v_add_f64 v[138:139], v[138:139], v[155:156]
	v_add_f64 v[54:55], v[167:168], v[54:55]
	;; [unrolled: 1-line block ×4, first 2 shown]
	v_mul_f64 v[106:107], v[64:65], s[26:27]
	v_mul_f64 v[64:65], v[64:65], s[4:5]
	v_add_f64 v[10:11], v[14:15], v[10:11]
	v_add_f64 v[8:9], v[12:13], v[8:9]
	;; [unrolled: 1-line block ×3, first 2 shown]
	v_add_f64 v[112:113], v[124:125], -v[165:166]
	v_fma_f64 v[134:135], v[68:69], s[26:27], v[159:160]
	v_mul_f64 v[189:190], v[82:83], s[34:35]
	v_mul_f64 v[179:180], v[74:75], s[18:19]
	;; [unrolled: 1-line block ×3, first 2 shown]
	v_add_f64 v[52:53], v[146:147], v[52:53]
	v_add_f64 v[128:129], v[128:129], -v[173:174]
	v_add_f64 v[60:61], v[120:121], v[60:61]
	v_fma_f64 v[120:121], v[92:93], s[20:21], v[144:145]
	v_fma_f64 v[16:17], v[82:83], s[30:31], v[26:27]
	;; [unrolled: 1-line block ×4, first 2 shown]
	v_fma_f64 v[122:123], v[74:75], s[22:23], -v[140:141]
	v_add_f64 v[24:25], v[24:25], v[54:55]
	v_add_f64 v[54:55], v[136:137], v[56:57]
	;; [unrolled: 1-line block ×3, first 2 shown]
	v_mul_f64 v[58:59], v[86:87], s[24:25]
	v_fma_f64 v[86:87], v[68:69], s[4:5], v[84:85]
	v_fma_f64 v[12:13], v[66:67], s[6:7], -v[64:65]
	v_fma_f64 v[14:15], v[66:67], s[24:25], -v[106:107]
	v_fma_f64 v[130:131], v[68:69], s[34:35], v[159:160]
	v_fma_f64 v[106:107], v[66:67], s[24:25], v[106:107]
	v_fma_f64 v[68:69], v[68:69], s[36:37], v[84:85]
	v_fma_f64 v[64:65], v[66:67], s[6:7], v[64:65]
	v_add_f64 v[6:7], v[10:11], v[6:7]
	v_add_f64 v[4:5], v[8:9], v[4:5]
	;; [unrolled: 1-line block ×6, first 2 shown]
	v_mul_f64 v[66:67], v[96:97], s[8:9]
	v_mul_f64 v[84:85], v[94:95], s[28:29]
	v_add_f64 v[126:127], v[2:3], v[134:135]
	v_mul_f64 v[96:97], v[96:97], s[22:23]
	v_mul_f64 v[94:95], v[94:95], s[16:17]
	v_fma_f64 v[138:139], v[88:89], s[24:25], -v[70:71]
	v_fma_f64 v[134:135], v[88:89], s[18:19], -v[20:21]
	v_fma_f64 v[20:21], v[88:89], s[18:19], v[20:21]
	v_fma_f64 v[136:137], v[92:93], s[26:27], v[58:59]
	v_add_f64 v[86:87], v[2:3], v[86:87]
	v_add_f64 v[8:9], v[0:1], v[12:13]
	;; [unrolled: 1-line block ×3, first 2 shown]
	v_fma_f64 v[12:13], v[92:93], s[38:39], v[144:145]
	v_add_f64 v[14:15], v[2:3], v[130:131]
	v_add_f64 v[106:107], v[0:1], v[106:107]
	v_fma_f64 v[58:59], v[92:93], s[34:35], v[58:59]
	v_add_f64 v[2:3], v[2:3], v[68:69]
	v_fma_f64 v[68:69], v[88:89], s[24:25], v[70:71]
	v_add_f64 v[0:1], v[0:1], v[64:65]
	v_add_f64 v[6:7], v[6:7], v[42:43]
	;; [unrolled: 1-line block ×3, first 2 shown]
	v_mul_f64 v[64:65], v[98:99], s[22:23]
	v_mul_f64 v[70:71], v[90:91], s[30:31]
	v_fma_f64 v[88:89], v[78:79], s[28:29], v[66:67]
	v_add_f64 v[92:93], v[120:121], v[126:127]
	v_mul_f64 v[98:99], v[98:99], s[18:19]
	v_mul_f64 v[90:91], v[90:91], s[20:21]
	v_fma_f64 v[126:127], v[78:79], s[16:17], v[96:97]
	v_fma_f64 v[130:131], v[76:77], s[22:23], -v[94:95]
	v_fma_f64 v[120:121], v[76:77], s[8:9], -v[84:85]
	v_fma_f64 v[40:41], v[78:79], s[14:15], v[66:67]
	v_add_f64 v[86:87], v[136:137], v[86:87]
	v_add_f64 v[8:9], v[138:139], v[8:9]
	;; [unrolled: 1-line block ×3, first 2 shown]
	v_fma_f64 v[42:43], v[78:79], s[30:31], v[96:97]
	v_add_f64 v[12:13], v[12:13], v[14:15]
	v_fma_f64 v[14:15], v[76:77], s[8:9], v[84:85]
	v_add_f64 v[20:21], v[20:21], v[106:107]
	v_add_f64 v[2:3], v[58:59], v[2:3]
	v_fma_f64 v[58:59], v[76:77], s[22:23], v[94:95]
	v_add_f64 v[0:1], v[68:69], v[0:1]
	v_add_f64 v[6:7], v[6:7], v[38:39]
	;; [unrolled: 1-line block ×3, first 2 shown]
	v_fma_f64 v[76:77], v[80:81], s[30:31], v[64:65]
	v_mul_f64 v[66:67], v[110:111], s[6:7]
	v_mul_f64 v[68:69], v[108:109], s[36:37]
	v_add_f64 v[78:79], v[88:89], v[92:93]
	v_mul_f64 v[88:89], v[110:111], s[8:9]
	v_mul_f64 v[92:93], v[108:109], s[14:15]
	v_fma_f64 v[94:95], v[80:81], s[20:21], v[98:99]
	v_fma_f64 v[96:97], v[72:73], s[18:19], -v[90:91]
	v_fma_f64 v[84:85], v[72:73], s[22:23], -v[70:71]
	v_fma_f64 v[36:37], v[80:81], s[16:17], v[64:65]
	v_add_f64 v[86:87], v[126:127], v[86:87]
	v_add_f64 v[8:9], v[130:131], v[8:9]
	;; [unrolled: 1-line block ×3, first 2 shown]
	v_fma_f64 v[38:39], v[72:73], s[22:23], v[70:71]
	v_add_f64 v[12:13], v[40:41], v[12:13]
	v_fma_f64 v[40:41], v[72:73], s[18:19], v[90:91]
	v_add_f64 v[14:15], v[14:15], v[20:21]
	;; [unrolled: 2-line block ×3, first 2 shown]
	v_add_f64 v[0:1], v[58:59], v[0:1]
	v_add_f64 v[34:35], v[6:7], v[34:35]
	;; [unrolled: 1-line block ×4, first 2 shown]
	v_fma_f64 v[64:65], v[82:83], s[36:37], v[66:67]
	v_fma_f64 v[72:73], v[74:75], s[6:7], -v[68:69]
	v_add_f64 v[70:71], v[76:77], v[78:79]
	v_fma_f64 v[76:77], v[82:83], s[14:15], v[88:89]
	v_fma_f64 v[80:81], v[74:75], s[8:9], -v[92:93]
	v_add_f64 v[124:125], v[142:143], -v[189:190]
	v_add_f64 v[42:43], v[116:117], -v[185:186]
	v_add_f64 v[58:59], v[128:129], v[62:63]
	v_add_f64 v[62:63], v[179:180], v[114:115]
	;; [unrolled: 1-line block ×6, first 2 shown]
	v_fma_f64 v[66:67], v[82:83], s[4:5], v[66:67]
	v_add_f64 v[36:37], v[36:37], v[12:13]
	v_fma_f64 v[68:69], v[74:75], s[6:7], v[68:69]
	v_add_f64 v[38:39], v[38:39], v[14:15]
	;; [unrolled: 2-line block ×4, first 2 shown]
	v_add_f64 v[2:3], v[16:17], v[22:23]
	v_add_f64 v[0:1], v[18:19], v[132:133]
	;; [unrolled: 1-line block ×15, first 2 shown]
	v_mul_u32_u24_e32 v36, 0xb0, v102
	v_add_f64 v[28:29], v[68:69], v[38:39]
	v_add_f64 v[34:35], v[82:83], v[86:87]
	;; [unrolled: 1-line block ×3, first 2 shown]
	v_add_nc_u32_e32 v36, 0, v36
	ds_write_b128 v36, v[16:19] offset:19360
	ds_write_b128 v36, v[12:15] offset:19376
	;; [unrolled: 1-line block ×11, first 2 shown]
.LBB0_23:
	s_or_b32 exec_lo, exec_lo, s33
	s_waitcnt lgkmcnt(0)
	s_barrier
	buffer_gl0_inv
	ds_read_b128 v[0:3], v150
	ds_read_b128 v[4:7], v150 offset:1760
	ds_read_b128 v[28:31], v150 offset:14960
	;; [unrolled: 1-line block ×13, first 2 shown]
	s_and_saveexec_b32 s1, s0
	s_cbranch_execz .LBB0_25
; %bb.24:
	ds_read_b128 v[44:47], v150 offset:12320
	ds_read_b128 v[48:51], v150 offset:25520
.LBB0_25:
	s_or_b32 exec_lo, exec_lo, s1
	v_add_nc_u32_e32 v108, 0x6e, v102
	v_and_b32_e32 v64, 0xff, v102
	v_add_nc_u32_e32 v103, 0xdc, v102
	v_mov_b32_e32 v69, 0xba2f
	v_add_nc_u32_e32 v65, 0x14a, v102
	v_and_b32_e32 v106, 0xff, v108
	v_mul_lo_u16 v66, 0x75, v64
	v_add_nc_u32_e32 v64, 0x1b8, v102
	v_mul_u32_u24_sdwa v68, v103, v69 dst_sel:DWORD dst_unused:UNUSED_PAD src0_sel:WORD_0 src1_sel:DWORD
	v_add_nc_u32_e32 v71, 0x226, v102
	v_mul_lo_u16 v67, 0x75, v106
	v_lshrrev_b16 v70, 8, v66
	v_add_nc_u32_e32 v73, 0x294, v102
	v_lshrrev_b32_e32 v107, 19, v68
	v_mul_u32_u24_sdwa v76, v71, v69 dst_sel:DWORD dst_unused:UNUSED_PAD src0_sel:WORD_0 src1_sel:DWORD
	v_lshrrev_b16 v72, 8, v67
	v_sub_nc_u16 v66, v102, v70
	v_mul_u32_u24_sdwa v67, v65, v69 dst_sel:DWORD dst_unused:UNUSED_PAD src0_sel:WORD_0 src1_sel:DWORD
	v_mul_u32_u24_sdwa v77, v73, v69 dst_sel:DWORD dst_unused:UNUSED_PAD src0_sel:WORD_0 src1_sel:DWORD
	v_lshrrev_b32_e32 v124, 19, v76
	v_sub_nc_u16 v74, v108, v72
	v_lshrrev_b16 v75, 1, v66
	v_mul_u32_u24_sdwa v66, v64, v69 dst_sel:DWORD dst_unused:UNUSED_PAD src0_sel:WORD_0 src1_sel:DWORD
	v_lshrrev_b32_e32 v122, 19, v67
	v_mov_b32_e32 v109, 4
	v_lshrrev_b16 v74, 1, v74
	v_and_b32_e32 v75, 0x7f, v75
	v_lshrrev_b32_e32 v123, 19, v66
	v_lshrrev_b32_e32 v125, 19, v77
	v_and_b32_e32 v74, 0x7f, v74
	v_add_nc_u16 v70, v75, v70
	v_mul_lo_u16 v75, v124, 11
	v_mul_lo_u16 v77, v125, 11
	v_add_nc_u16 v72, v74, v72
	v_lshrrev_b16 v126, 3, v70
	v_mul_lo_u16 v74, v107, 11
	v_mul_lo_u16 v70, v122, 11
	v_sub_nc_u16 v82, v71, v75
	v_lshrrev_b16 v127, 3, v72
	v_mul_lo_u16 v76, v126, 11
	v_mul_lo_u16 v72, v123, 11
	v_sub_nc_u16 v74, v103, v74
	v_sub_nc_u16 v70, v65, v70
	v_mul_lo_u16 v78, v127, 11
	v_sub_nc_u16 v76, v102, v76
	v_sub_nc_u16 v79, v64, v72
	v_lshlrev_b32_sdwa v128, v109, v74 dst_sel:DWORD dst_unused:UNUSED_PAD src0_sel:DWORD src1_sel:WORD_0
	v_sub_nc_u16 v86, v73, v77
	v_sub_nc_u16 v72, v108, v78
	v_lshlrev_b32_sdwa v129, v109, v76 dst_sel:DWORD dst_unused:UNUSED_PAD src0_sel:DWORD src1_sel:BYTE_0
	v_lshlrev_b32_sdwa v131, v109, v70 dst_sel:DWORD dst_unused:UNUSED_PAD src0_sel:DWORD src1_sel:WORD_0
	v_lshlrev_b32_sdwa v132, v109, v79 dst_sel:DWORD dst_unused:UNUSED_PAD src0_sel:DWORD src1_sel:WORD_0
	;; [unrolled: 1-line block ×3, first 2 shown]
	v_lshlrev_b32_sdwa v130, v109, v72 dst_sel:DWORD dst_unused:UNUSED_PAD src0_sel:DWORD src1_sel:BYTE_0
	s_clause 0x1
	global_load_dwordx4 v[70:73], v128, s[12:13]
	global_load_dwordx4 v[74:77], v129, s[12:13]
	v_lshlrev_b32_sdwa v134, v109, v86 dst_sel:DWORD dst_unused:UNUSED_PAD src0_sel:DWORD src1_sel:WORD_0
	s_clause 0x4
	global_load_dwordx4 v[82:85], v131, s[12:13]
	global_load_dwordx4 v[78:81], v130, s[12:13]
	;; [unrolled: 1-line block ×5, first 2 shown]
	s_waitcnt vmcnt(0) lgkmcnt(0)
	s_barrier
	buffer_gl0_inv
	v_mul_f64 v[98:99], v[34:35], v[72:73]
	v_mul_f64 v[110:111], v[62:63], v[76:77]
	;; [unrolled: 1-line block ×14, first 2 shown]
	v_fma_f64 v[32:33], v[32:33], v[70:71], -v[98:99]
	v_fma_f64 v[60:61], v[60:61], v[74:75], -v[110:111]
	v_fma_f64 v[62:63], v[62:63], v[74:75], v[76:77]
	v_fma_f64 v[70:71], v[34:35], v[70:71], v[72:73]
	v_fma_f64 v[74:75], v[28:29], v[78:79], -v[112:113]
	v_fma_f64 v[30:31], v[30:31], v[78:79], v[80:81]
	v_fma_f64 v[72:73], v[36:37], v[82:83], -v[114:115]
	;; [unrolled: 2-line block ×5, first 2 shown]
	v_fma_f64 v[84:85], v[54:55], v[94:95], v[96:97]
	v_mov_b32_e32 v86, 0x160
	v_add_f64 v[28:29], v[12:13], -v[32:33]
	v_add_f64 v[32:33], v[0:1], -v[60:61]
	;; [unrolled: 1-line block ×14, first 2 shown]
	v_mul_u32_u24_sdwa v75, v126, v86 dst_sel:DWORD dst_unused:UNUSED_PAD src0_sel:WORD_0 src1_sel:DWORD
	v_mul_u32_u24_sdwa v76, v127, v86 dst_sel:DWORD dst_unused:UNUSED_PAD src0_sel:WORD_0 src1_sel:DWORD
	v_mul_u32_u24_e32 v70, 0x160, v107
	v_mul_u32_u24_e32 v71, 0x160, v122
	;; [unrolled: 1-line block ×4, first 2 shown]
	v_fma_f64 v[12:13], v[12:13], 2.0, -v[28:29]
	v_fma_f64 v[0:1], v[0:1], 2.0, -v[32:33]
	;; [unrolled: 1-line block ×3, first 2 shown]
	v_mul_u32_u24_e32 v74, 0x160, v125
	v_add3_u32 v75, 0, v75, v129
	v_fma_f64 v[4:5], v[4:5], 2.0, -v[36:37]
	v_fma_f64 v[6:7], v[6:7], 2.0, -v[38:39]
	;; [unrolled: 1-line block ×11, first 2 shown]
	v_add3_u32 v76, 0, v76, v130
	v_add3_u32 v70, 0, v70, v128
	;; [unrolled: 1-line block ×6, first 2 shown]
	ds_write_b128 v75, v[32:35] offset:176
	ds_write_b128 v75, v[0:3]
	ds_write_b128 v76, v[36:39] offset:176
	ds_write_b128 v76, v[4:7]
	ds_write_b128 v70, v[12:15]
	ds_write_b128 v70, v[28:31] offset:176
	ds_write_b128 v71, v[8:11]
	ds_write_b128 v71, v[40:43] offset:176
	;; [unrolled: 2-line block ×5, first 2 shown]
	s_and_saveexec_b32 s1, s0
	s_cbranch_execz .LBB0_27
; %bb.26:
	v_add_nc_u32_e32 v0, 0x302, v102
	v_mul_u32_u24_sdwa v1, v0, v69 dst_sel:DWORD dst_unused:UNUSED_PAD src0_sel:WORD_0 src1_sel:DWORD
	v_lshrrev_b32_e32 v8, 19, v1
	v_mul_lo_u16 v1, v8, 11
	v_mul_lo_u16 v8, v8, 22
	v_sub_nc_u16 v0, v0, v1
	v_lshlrev_b32_sdwa v8, v109, v8 dst_sel:DWORD dst_unused:UNUSED_PAD src0_sel:DWORD src1_sel:WORD_0
	v_lshlrev_b32_sdwa v9, v109, v0 dst_sel:DWORD dst_unused:UNUSED_PAD src0_sel:DWORD src1_sel:WORD_0
	global_load_dwordx4 v[0:3], v9, s[12:13]
	v_add3_u32 v8, 0, v9, v8
	s_waitcnt vmcnt(0)
	v_mul_f64 v[4:5], v[48:49], v[2:3]
	v_mul_f64 v[2:3], v[50:51], v[2:3]
	v_fma_f64 v[4:5], v[50:51], v[0:1], v[4:5]
	v_fma_f64 v[0:1], v[48:49], v[0:1], -v[2:3]
	v_add_f64 v[2:3], v[46:47], -v[4:5]
	v_add_f64 v[0:1], v[44:45], -v[0:1]
	v_fma_f64 v[6:7], v[46:47], 2.0, -v[2:3]
	v_fma_f64 v[4:5], v[44:45], 2.0, -v[0:1]
	ds_write_b128 v8, v[4:7]
	ds_write_b128 v8, v[0:3] offset:176
.LBB0_27:
	s_or_b32 exec_lo, exec_lo, s1
	v_lshrrev_b16 v0, 1, v102
	v_lshrrev_b16 v1, 1, v106
	v_lshrrev_b32_e32 v110, 20, v68
	v_lshrrev_b32_e32 v116, 20, v67
	;; [unrolled: 1-line block ×3, first 2 shown]
	v_and_b32_e32 v0, 0x7f, v0
	v_mul_lo_u16 v1, 0xbb, v1
	v_mul_lo_u16 v2, v110, 22
	v_mov_b32_e32 v3, 5
	s_waitcnt lgkmcnt(0)
	v_mul_lo_u16 v0, 0xbb, v0
	v_lshrrev_b16 v113, 11, v1
	v_mul_lo_u16 v1, v116, 22
	v_sub_nc_u16 v118, v103, v2
	v_mul_lo_u16 v2, v120, 22
	v_lshrrev_b16 v117, 11, v0
	v_mul_lo_u16 v0, v113, 22
	v_sub_nc_u16 v119, v65, v1
	v_lshlrev_b32_sdwa v1, v3, v118 dst_sel:DWORD dst_unused:UNUSED_PAD src0_sel:DWORD src1_sel:WORD_0
	v_sub_nc_u16 v121, v64, v2
	v_mul_lo_u16 v4, v117, 22
	v_sub_nc_u16 v114, v108, v0
	v_lshlrev_b32_sdwa v0, v3, v119 dst_sel:DWORD dst_unused:UNUSED_PAD src0_sel:DWORD src1_sel:WORD_0
	s_barrier
	buffer_gl0_inv
	v_sub_nc_u16 v115, v102, v4
	s_clause 0x1
	global_load_dwordx4 v[32:35], v1, s[12:13] offset:176
	global_load_dwordx4 v[28:31], v1, s[12:13] offset:192
	v_lshlrev_b32_sdwa v1, v3, v121 dst_sel:DWORD dst_unused:UNUSED_PAD src0_sel:DWORD src1_sel:WORD_0
	v_lshlrev_b32_sdwa v2, v3, v114 dst_sel:DWORD dst_unused:UNUSED_PAD src0_sel:DWORD src1_sel:BYTE_0
	s_clause 0x1
	global_load_dwordx4 v[40:43], v0, s[12:13] offset:176
	global_load_dwordx4 v[36:39], v0, s[12:13] offset:192
	v_lshlrev_b32_sdwa v0, v3, v115 dst_sel:DWORD dst_unused:UNUSED_PAD src0_sel:DWORD src1_sel:BYTE_0
	s_clause 0x5
	global_load_dwordx4 v[60:63], v1, s[12:13] offset:176
	global_load_dwordx4 v[24:27], v2, s[12:13] offset:176
	;; [unrolled: 1-line block ×6, first 2 shown]
	ds_read_b128 v[4:7], v150
	ds_read_b128 v[0:3], v150 offset:1760
	ds_read_b128 v[64:67], v150 offset:17600
	;; [unrolled: 1-line block ×14, first 2 shown]
	v_add_nc_u32_e32 v111, 0xffffffbe, v102
	v_mul_lo_u16 v106, 0xf9, v106
	v_cmp_gt_u32_e64 s0, 0x42, v102
	v_mov_b32_e32 v122, 0x420
	v_mov_b32_e32 v107, 0
	;; [unrolled: 1-line block ×3, first 2 shown]
	v_lshrrev_b16 v112, 14, v106
	v_cndmask_b32_e64 v111, v111, v102, s0
	v_mul_u32_u24_e32 v140, 0x420, v116
	v_mul_u32_u24_e32 v139, 0x420, v110
	v_mul_u32_u24_sdwa v110, v103, v123 dst_sel:DWORD dst_unused:UNUSED_PAD src0_sel:WORD_0 src1_sel:DWORD
	v_mul_lo_u16 v116, 0x42, v112
	v_lshlrev_b32_e32 v106, 2, v111
	v_mul_u32_u24_e32 v141, 0x420, v120
	v_mul_u32_u24_sdwa v142, v113, v122 dst_sel:DWORD dst_unused:UNUSED_PAD src0_sel:WORD_0 src1_sel:DWORD
	v_lshlrev_b32_sdwa v143, v109, v118 dst_sel:DWORD dst_unused:UNUSED_PAD src0_sel:DWORD src1_sel:WORD_0
	v_lshlrev_b32_sdwa v144, v109, v119 dst_sel:DWORD dst_unused:UNUSED_PAD src0_sel:DWORD src1_sel:WORD_0
	;; [unrolled: 1-line block ×3, first 2 shown]
	v_lshlrev_b64 v[118:119], 4, v[106:107]
	v_sub_nc_u16 v113, v108, v116
	v_mul_u32_u24_sdwa v106, v117, v122 dst_sel:DWORD dst_unused:UNUSED_PAD src0_sel:WORD_0 src1_sel:DWORD
	s_mov_b32 s4, 0xe8584caa
	s_mov_b32 s5, 0x3febb67a
	;; [unrolled: 1-line block ×4, first 2 shown]
	v_lshlrev_b32_sdwa v115, v109, v115 dst_sel:DWORD dst_unused:UNUSED_PAD src0_sel:DWORD src1_sel:BYTE_0
	v_lshlrev_b32_sdwa v114, v109, v114 dst_sel:DWORD dst_unused:UNUSED_PAD src0_sel:DWORD src1_sel:BYTE_0
	v_lshrrev_b32_e32 v110, 22, v110
	v_mov_b32_e32 v138, 6
	v_add3_u32 v139, 0, v139, v143
	v_add3_u32 v140, 0, v140, v144
	s_waitcnt vmcnt(0) lgkmcnt(0)
	s_barrier
	buffer_gl0_inv
	s_mov_b32 s14, 0x134454ff
	s_mov_b32 s15, 0x3fee6f0e
	;; [unrolled: 1-line block ×5, first 2 shown]
	v_mul_f64 v[116:117], v[86:87], v[34:35]
	v_mul_f64 v[34:35], v[84:85], v[34:35]
	;; [unrolled: 1-line block ×20, first 2 shown]
	v_fma_f64 v[84:85], v[84:85], v[32:33], -v[116:117]
	v_fma_f64 v[32:33], v[86:87], v[32:33], v[34:35]
	v_fma_f64 v[34:35], v[92:93], v[28:29], -v[120:121]
	v_fma_f64 v[28:29], v[94:95], v[28:29], v[30:31]
	;; [unrolled: 2-line block ×5, first 2 shown]
	v_fma_f64 v[62:63], v[68:69], v[24:25], -v[128:129]
	v_fma_f64 v[68:69], v[76:77], v[52:53], -v[132:133]
	;; [unrolled: 1-line block ×3, first 2 shown]
	v_fma_f64 v[52:53], v[78:79], v[52:53], v[54:55]
	v_fma_f64 v[48:49], v[66:67], v[48:49], v[50:51]
	v_fma_f64 v[56:57], v[56:57], v[20:21], -v[130:131]
	v_fma_f64 v[24:25], v[70:71], v[24:25], v[26:27]
	v_fma_f64 v[20:21], v[58:59], v[20:21], v[22:23]
	v_fma_f64 v[50:51], v[72:73], v[44:45], -v[136:137]
	v_fma_f64 v[22:23], v[74:75], v[44:45], v[46:47]
	v_add3_u32 v116, 0, v141, v145
	v_add_f64 v[26:27], v[16:17], v[84:85]
	v_add_f64 v[54:55], v[18:19], v[32:33]
	;; [unrolled: 1-line block ×3, first 2 shown]
	v_add_f64 v[46:47], v[32:33], -v[28:29]
	v_add_f64 v[66:67], v[8:9], v[30:31]
	v_add_f64 v[32:33], v[32:33], v[28:29]
	v_add_f64 v[70:71], v[30:31], v[42:43]
	v_add_f64 v[80:81], v[30:31], -v[42:43]
	v_add_f64 v[72:73], v[40:41], -v[36:37]
	v_add_f64 v[74:75], v[10:11], v[40:41]
	v_add_f64 v[40:41], v[40:41], v[36:37]
	v_add_f64 v[58:59], v[84:85], -v[34:35]
	v_add_f64 v[78:79], v[68:69], v[64:65]
	v_add_f64 v[90:91], v[14:15], v[60:61]
	v_add_f64 v[30:31], v[52:53], v[48:49]
	v_add_f64 v[76:77], v[62:63], v[56:57]
	v_add_f64 v[96:97], v[4:5], v[68:69]
	v_add_f64 v[86:87], v[24:25], v[20:21]
	v_add_f64 v[84:85], v[38:39], v[50:51]
	v_add_f64 v[88:89], v[60:61], -v[22:23]
	v_add_f64 v[60:61], v[60:61], v[22:23]
	v_add_f64 v[98:99], v[6:7], v[52:53]
	;; [unrolled: 1-line block ×3, first 2 shown]
	v_add_f64 v[92:93], v[38:39], -v[50:51]
	v_add_f64 v[38:39], v[0:1], v[62:63]
	v_add_f64 v[52:53], v[52:53], -v[48:49]
	v_add_f64 v[68:69], v[68:69], -v[64:65]
	;; [unrolled: 1-line block ×3, first 2 shown]
	v_add_f64 v[24:25], v[2:3], v[24:25]
	v_add_f64 v[62:63], v[62:63], -v[56:57]
	v_fma_f64 v[32:33], v[32:33], -0.5, v[18:19]
	v_fma_f64 v[44:45], v[44:45], -0.5, v[16:17]
	v_fma_f64 v[70:71], v[70:71], -0.5, v[8:9]
	v_fma_f64 v[78:79], v[78:79], -0.5, v[4:5]
	v_add_f64 v[4:5], v[26:27], v[34:35]
	v_fma_f64 v[30:31], v[30:31], -0.5, v[6:7]
	v_fma_f64 v[76:77], v[76:77], -0.5, v[0:1]
	v_add_f64 v[6:7], v[54:55], v[28:29]
	v_fma_f64 v[54:55], v[86:87], -0.5, v[2:3]
	v_add_f64 v[0:1], v[66:67], v[42:43]
	;; [unrolled: 2-line block ×3, first 2 shown]
	v_fma_f64 v[74:75], v[84:85], -0.5, v[12:13]
	v_fma_f64 v[60:61], v[60:61], -0.5, v[14:15]
	v_add_f64 v[16:17], v[96:97], v[64:65]
	v_add_f64 v[18:19], v[98:99], v[48:49]
	;; [unrolled: 1-line block ×6, first 2 shown]
	v_fma_f64 v[22:23], v[58:59], s[6:7], v[32:33]
	v_fma_f64 v[26:27], v[58:59], s[4:5], v[32:33]
	;; [unrolled: 1-line block ×20, first 2 shown]
	v_add3_u32 v62, 0, v106, v115
	v_add_co_u32 v60, s0, s12, v118
	v_add_co_ci_u32_e64 v61, s0, s13, v119, s0
	v_add3_u32 v63, 0, v142, v114
	ds_write_b128 v62, v[16:19]
	ds_write_b128 v62, v[36:39] offset:352
	ds_write_b128 v62, v[40:43] offset:704
	ds_write_b128 v63, v[12:15]
	ds_write_b128 v63, v[32:35] offset:352
	ds_write_b128 v63, v[44:47] offset:704
	;; [unrolled: 3-line block ×5, first 2 shown]
	v_mul_lo_u16 v0, 0x42, v110
	s_waitcnt lgkmcnt(0)
	s_barrier
	buffer_gl0_inv
	s_clause 0x1
	global_load_dwordx4 v[28:31], v[60:61], off offset:880
	global_load_dwordx4 v[24:27], v[60:61], off offset:896
	v_lshlrev_b32_sdwa v1, v138, v113 dst_sel:DWORD dst_unused:UNUSED_PAD src0_sel:DWORD src1_sel:BYTE_0
	s_clause 0x1
	global_load_dwordx4 v[20:23], v[60:61], off offset:912
	global_load_dwordx4 v[12:15], v[60:61], off offset:928
	v_sub_nc_u16 v48, v103, v0
	s_clause 0x1
	global_load_dwordx4 v[16:19], v1, s[12:13] offset:880
	global_load_dwordx4 v[8:11], v1, s[12:13] offset:896
	v_mov_b32_e32 v49, 0x14a0
	v_lshlrev_b32_sdwa v32, v138, v48 dst_sel:DWORD dst_unused:UNUSED_PAD src0_sel:DWORD src1_sel:WORD_0
	s_clause 0x5
	global_load_dwordx4 v[4:7], v1, s[12:13] offset:912
	global_load_dwordx4 v[0:3], v1, s[12:13] offset:928
	;; [unrolled: 1-line block ×6, first 2 shown]
	v_lshlrev_b32_e32 v106, 2, v102
	v_mul_u32_u24_sdwa v53, v112, v49 dst_sel:DWORD dst_unused:UNUSED_PAD src0_sel:WORD_0 src1_sel:DWORD
	v_cmp_lt_u32_e64 s0, 0x41, v102
	v_lshlrev_b32_e32 v52, 4, v111
	v_mul_u32_u24_e32 v55, 0x14a0, v110
	v_lshlrev_b64 v[49:50], 4, v[106:107]
	v_lshlrev_b32_e32 v106, 2, v108
	v_cndmask_b32_e64 v51, 0, 0x14a0, s0
	v_lshlrev_b32_sdwa v54, v109, v113 dst_sel:DWORD dst_unused:UNUSED_PAD src0_sel:DWORD src1_sel:BYTE_0
	v_lshlrev_b32_sdwa v48, v109, v48 dst_sel:DWORD dst_unused:UNUSED_PAD src0_sel:DWORD src1_sel:WORD_0
	s_mov_b32 s6, 0x4755a5e
	v_add_co_u32 v49, s0, s12, v49
	v_add_co_ci_u32_e64 v50, s0, s13, v50, s0
	v_add3_u32 v175, 0, v51, v52
	v_lshlrev_b64 v[51:52], 4, v[106:107]
	v_add_co_u32 v110, s0, 0x13f0, v49
	v_add_co_ci_u32_e64 v111, s0, 0, v50, s0
	v_add_co_u32 v112, s0, 0x1000, v49
	v_add_co_ci_u32_e64 v113, s0, 0, v50, s0
	v_add_co_u32 v76, s0, s12, v51
	v_add3_u32 v176, 0, v53, v54
	v_lshlrev_b32_e32 v106, 2, v103
	v_add3_u32 v103, 0, v55, v48
	v_add_co_ci_u32_e64 v77, s0, s13, v52, s0
	ds_read_b128 v[48:51], v150 offset:5280
	ds_read_b128 v[52:55], v150 offset:10560
	;; [unrolled: 1-line block ×7, first 2 shown]
	v_add_co_u32 v114, s0, 0x13f0, v76
	v_add_co_ci_u32_e64 v115, s0, 0, v77, s0
	v_add_co_u32 v116, s0, 0x1000, v76
	v_add_co_ci_u32_e64 v117, s0, 0, v77, s0
	ds_read_b128 v[76:79], v150 offset:22880
	ds_read_b128 v[80:83], v150 offset:3520
	;; [unrolled: 1-line block ×6, first 2 shown]
	s_mov_b32 s7, 0x3fe2cf23
	s_mov_b32 s8, s6
	;; [unrolled: 1-line block ×4, first 2 shown]
	v_lshlrev_b64 v[108:109], 4, v[106:107]
	s_waitcnt vmcnt(11) lgkmcnt(12)
	v_mul_f64 v[118:119], v[50:51], v[30:31]
	v_mul_f64 v[30:31], v[48:49], v[30:31]
	s_waitcnt vmcnt(10) lgkmcnt(11)
	v_mul_f64 v[120:121], v[54:55], v[26:27]
	v_mul_f64 v[26:27], v[52:53], v[26:27]
	;; [unrolled: 3-line block ×12, first 2 shown]
	v_fma_f64 v[48:49], v[48:49], v[28:29], -v[118:119]
	v_fma_f64 v[28:29], v[50:51], v[28:29], v[30:31]
	v_fma_f64 v[30:31], v[52:53], v[24:25], -v[120:121]
	v_fma_f64 v[26:27], v[54:55], v[24:25], v[26:27]
	;; [unrolled: 2-line block ×3, first 2 shown]
	v_fma_f64 v[52:53], v[58:59], v[20:21], v[124:125]
	v_fma_f64 v[12:13], v[60:61], v[12:13], -v[126:127]
	ds_read_b128 v[22:25], v150
	ds_read_b128 v[18:21], v150 offset:1760
	v_fma_f64 v[54:55], v[64:65], v[16:17], -v[128:129]
	v_fma_f64 v[16:17], v[66:67], v[16:17], v[130:131]
	v_fma_f64 v[56:57], v[68:69], v[8:9], -v[132:133]
	v_fma_f64 v[8:9], v[70:71], v[8:9], v[10:11]
	;; [unrolled: 2-line block ×8, first 2 shown]
	v_add_f64 v[46:47], v[30:31], v[50:51]
	v_add_f64 v[64:65], v[48:49], -v[30:31]
	s_waitcnt lgkmcnt(1)
	v_add_f64 v[34:35], v[22:23], v[48:49]
	v_add_f64 v[66:67], v[12:13], -v[50:51]
	v_add_f64 v[74:75], v[24:25], v[28:29]
	v_add_f64 v[76:77], v[26:27], v[52:53]
	;; [unrolled: 1-line block ×4, first 2 shown]
	v_add_f64 v[70:71], v[30:31], -v[48:49]
	v_add_f64 v[72:73], v[50:51], -v[12:13]
	s_waitcnt lgkmcnt(0)
	v_add_f64 v[92:93], v[18:19], v[54:55]
	v_add_f64 v[94:95], v[56:57], v[10:11]
	v_add_f64 v[128:129], v[20:21], v[16:17]
	v_add_f64 v[130:131], v[8:9], v[4:5]
	v_add_f64 v[122:123], v[54:55], v[6:7]
	v_add_f64 v[138:139], v[16:17], v[58:59]
	v_add_f64 v[84:85], v[28:29], -v[26:27]
	v_add_f64 v[86:87], v[14:15], -v[52:53]
	;; [unrolled: 1-line block ×6, first 2 shown]
	v_add_f64 v[142:143], v[80:81], v[0:1]
	v_add_f64 v[144:145], v[44:45], v[42:43]
	v_add_f64 v[161:162], v[82:83], v[2:3]
	v_add_f64 v[163:164], v[40:41], v[36:37]
	v_add_f64 v[151:152], v[0:1], -v[44:45]
	v_add_f64 v[155:156], v[0:1], v[38:39]
	v_add_f64 v[157:158], v[44:45], -v[0:1]
	v_add_f64 v[165:166], v[0:1], -v[38:39]
	;; [unrolled: 1-line block ×4, first 2 shown]
	v_add_f64 v[171:172], v[2:3], v[32:33]
	v_add_f64 v[60:61], v[28:29], -v[14:15]
	v_add_f64 v[62:63], v[26:27], -v[52:53]
	;; [unrolled: 1-line block ×8, first 2 shown]
	v_add_f64 v[30:31], v[34:35], v[30:31]
	v_fma_f64 v[34:35], v[46:47], -0.5, v[22:23]
	v_add_f64 v[46:47], v[64:65], v[66:67]
	v_add_f64 v[26:27], v[74:75], v[26:27]
	v_fma_f64 v[66:67], v[76:77], -0.5, v[24:25]
	v_add_f64 v[118:119], v[54:55], -v[56:57]
	v_add_f64 v[120:121], v[6:7], -v[10:11]
	v_fma_f64 v[22:23], v[68:69], -0.5, v[22:23]
	v_fma_f64 v[24:25], v[88:89], -0.5, v[24:25]
	v_add_f64 v[98:99], v[8:9], -v[4:5]
	v_add_f64 v[124:125], v[56:57], -v[54:55]
	;; [unrolled: 1-line block ×4, first 2 shown]
	v_add_f64 v[64:65], v[70:71], v[72:73]
	v_add_f64 v[56:57], v[92:93], v[56:57]
	v_fma_f64 v[70:71], v[94:95], -0.5, v[18:19]
	v_add_f64 v[8:9], v[128:129], v[8:9]
	v_fma_f64 v[76:77], v[130:131], -0.5, v[20:21]
	v_add_f64 v[126:127], v[10:11], -v[6:7]
	v_fma_f64 v[18:19], v[122:123], -0.5, v[18:19]
	v_fma_f64 v[20:21], v[138:139], -0.5, v[20:21]
	v_add_f64 v[148:149], v[40:41], -v[36:37]
	v_add_f64 v[167:168], v[44:45], -v[42:43]
	v_add_f64 v[68:69], v[84:85], v[86:87]
	v_add_f64 v[86:87], v[16:17], v[140:141]
	;; [unrolled: 1-line block ×3, first 2 shown]
	v_fma_f64 v[44:45], v[144:145], -0.5, v[80:81]
	v_add_f64 v[40:41], v[161:162], v[40:41]
	v_fma_f64 v[92:93], v[163:164], -0.5, v[82:83]
	v_fma_f64 v[80:81], v[155:156], -0.5, v[80:81]
	v_add_f64 v[94:95], v[0:1], v[169:170]
	v_fma_f64 v[0:1], v[171:172], -0.5, v[82:83]
	v_add_f64 v[90:91], v[52:53], -v[14:15]
	v_add_f64 v[82:83], v[2:3], v[173:174]
	v_add_f64 v[2:3], v[30:31], v[50:51]
	v_fma_f64 v[30:31], v[60:61], s[14:15], v[34:35]
	v_add_f64 v[26:27], v[26:27], v[52:53]
	v_fma_f64 v[52:53], v[48:49], s[16:17], v[66:67]
	;; [unrolled: 2-line block ×3, first 2 shown]
	v_fma_f64 v[50:51], v[62:63], s[16:17], v[22:23]
	v_fma_f64 v[22:23], v[62:63], s[14:15], v[22:23]
	;; [unrolled: 1-line block ×5, first 2 shown]
	v_add_f64 v[136:137], v[58:59], -v[4:5]
	v_add_f64 v[10:11], v[56:57], v[10:11]
	v_fma_f64 v[56:57], v[96:97], s[14:15], v[70:71]
	v_add_f64 v[8:9], v[8:9], v[4:5]
	v_fma_f64 v[122:123], v[54:55], s[16:17], v[76:77]
	;; [unrolled: 2-line block ×3, first 2 shown]
	v_fma_f64 v[120:121], v[98:99], s[16:17], v[18:19]
	v_fma_f64 v[124:125], v[132:133], s[14:15], v[20:21]
	;; [unrolled: 1-line block ×5, first 2 shown]
	v_add_f64 v[153:154], v[38:39], -v[42:43]
	v_add_f64 v[159:160], v[42:43], -v[38:39]
	v_add_f64 v[16:17], v[16:17], v[42:43]
	v_fma_f64 v[42:43], v[146:147], s[14:15], v[44:45]
	v_add_f64 v[36:37], v[40:41], v[36:37]
	v_fma_f64 v[40:41], v[165:166], s[16:17], v[92:93]
	v_fma_f64 v[126:127], v[148:149], s[16:17], v[80:81]
	;; [unrolled: 1-line block ×7, first 2 shown]
	v_add_f64 v[0:1], v[2:3], v[12:13]
	v_fma_f64 v[12:13], v[62:63], s[6:7], v[30:31]
	v_add_f64 v[2:3], v[26:27], v[14:15]
	v_fma_f64 v[14:15], v[78:79], s[8:9], v[52:53]
	;; [unrolled: 2-line block ×3, first 2 shown]
	v_fma_f64 v[34:35], v[60:61], s[6:7], v[50:51]
	v_fma_f64 v[22:23], v[60:61], s[8:9], v[22:23]
	;; [unrolled: 1-line block ×5, first 2 shown]
	v_add_f64 v[84:85], v[134:135], v[136:137]
	v_add_f64 v[4:5], v[10:11], v[6:7]
	v_fma_f64 v[52:53], v[98:99], s[6:7], v[56:57]
	v_add_f64 v[6:7], v[8:9], v[58:59]
	v_fma_f64 v[58:59], v[132:133], s[8:9], v[122:123]
	v_fma_f64 v[56:57], v[98:99], s[8:9], v[70:71]
	;; [unrolled: 1-line block ×7, first 2 shown]
	v_add_f64 v[88:89], v[151:152], v[153:154]
	v_fma_f64 v[76:77], v[148:149], s[6:7], v[42:43]
	v_fma_f64 v[98:99], v[167:168], s[8:9], v[40:41]
	v_add_f64 v[90:91], v[157:158], v[159:160]
	v_fma_f64 v[96:97], v[146:147], s[6:7], v[126:127]
	v_fma_f64 v[118:119], v[165:166], s[8:9], v[128:129]
	;; [unrolled: 1-line block ×13, first 2 shown]
	v_add_f64 v[8:9], v[16:17], v[38:39]
	v_fma_f64 v[16:17], v[46:47], s[4:5], v[30:31]
	v_fma_f64 v[28:29], v[72:73], s[4:5], v[52:53]
	;; [unrolled: 1-line block ×3, first 2 shown]
	v_add_f64 v[10:11], v[36:37], v[32:33]
	v_fma_f64 v[36:37], v[74:75], s[4:5], v[60:61]
	v_fma_f64 v[38:39], v[86:87], s[4:5], v[70:71]
	;; [unrolled: 1-line block ×14, first 2 shown]
	v_add_co_u32 v60, s0, s12, v108
	v_add_co_ci_u32_e64 v61, s0, s13, v109, s0
	s_barrier
	buffer_gl0_inv
	ds_write_b128 v175, v[0:3]
	ds_write_b128 v175, v[12:15] offset:1056
	ds_write_b128 v175, v[20:23] offset:2112
	ds_write_b128 v175, v[24:27] offset:3168
	ds_write_b128 v175, v[16:19] offset:4224
	ds_write_b128 v176, v[4:7]
	ds_write_b128 v176, v[28:31] offset:1056
	ds_write_b128 v176, v[36:39] offset:2112
	ds_write_b128 v176, v[40:43] offset:3168
	ds_write_b128 v176, v[32:35] offset:4224
	ds_write_b128 v103, v[8:11]
	ds_write_b128 v103, v[44:47] offset:1056
	ds_write_b128 v103, v[52:55] offset:2112
	ds_write_b128 v103, v[56:59] offset:3168
	ds_write_b128 v103, v[48:51] offset:4224
	s_waitcnt lgkmcnt(0)
	s_barrier
	buffer_gl0_inv
	s_clause 0x2
	global_load_dwordx4 v[0:3], v[112:113], off offset:1008
	global_load_dwordx4 v[4:7], v[110:111], off offset:32
	;; [unrolled: 1-line block ×3, first 2 shown]
	v_add_co_u32 v32, s0, 0x1000, v60
	v_add_co_ci_u32_e64 v33, s0, 0, v61, s0
	s_clause 0x3
	global_load_dwordx4 v[12:15], v[110:111], off offset:48
	global_load_dwordx4 v[16:19], v[116:117], off offset:1008
	;; [unrolled: 1-line block ×4, first 2 shown]
	v_add_co_u32 v44, s0, 0x13f0, v60
	v_add_co_ci_u32_e64 v45, s0, 0, v61, s0
	s_clause 0x4
	global_load_dwordx4 v[28:31], v[114:115], off offset:48
	global_load_dwordx4 v[32:35], v[32:33], off offset:1008
	;; [unrolled: 1-line block ×5, first 2 shown]
	ds_read_b128 v[48:51], v150 offset:5280
	ds_read_b128 v[52:55], v150 offset:10560
	ds_read_b128 v[56:59], v150 offset:15840
	ds_read_b128 v[60:63], v150 offset:21120
	ds_read_b128 v[64:67], v150 offset:7040
	ds_read_b128 v[68:71], v150 offset:12320
	ds_read_b128 v[72:75], v150 offset:17600
	ds_read_b128 v[76:79], v150 offset:22880
	ds_read_b128 v[80:83], v150 offset:3520
	ds_read_b128 v[84:87], v150 offset:8800
	ds_read_b128 v[88:91], v150 offset:14080
	ds_read_b128 v[92:95], v150 offset:19360
	ds_read_b128 v[96:99], v150 offset:24640
	s_waitcnt vmcnt(11) lgkmcnt(12)
	v_mul_f64 v[108:109], v[50:51], v[2:3]
	v_mul_f64 v[2:3], v[48:49], v[2:3]
	s_waitcnt vmcnt(9) lgkmcnt(11)
	v_mul_f64 v[110:111], v[54:55], v[10:11]
	v_mul_f64 v[10:11], v[52:53], v[10:11]
	s_waitcnt lgkmcnt(10)
	v_mul_f64 v[112:113], v[58:59], v[6:7]
	v_mul_f64 v[6:7], v[56:57], v[6:7]
	s_waitcnt vmcnt(8) lgkmcnt(9)
	v_mul_f64 v[114:115], v[62:63], v[14:15]
	v_mul_f64 v[14:15], v[60:61], v[14:15]
	s_waitcnt vmcnt(7) lgkmcnt(8)
	;; [unrolled: 3-line block ×3, first 2 shown]
	v_mul_f64 v[118:119], v[70:71], v[26:27]
	v_mul_f64 v[26:27], v[68:69], v[26:27]
	s_waitcnt lgkmcnt(6)
	v_mul_f64 v[120:121], v[74:75], v[22:23]
	v_mul_f64 v[22:23], v[72:73], v[22:23]
	s_waitcnt vmcnt(4) lgkmcnt(5)
	v_mul_f64 v[122:123], v[78:79], v[30:31]
	v_mul_f64 v[30:31], v[76:77], v[30:31]
	s_waitcnt vmcnt(3) lgkmcnt(3)
	;; [unrolled: 3-line block ×5, first 2 shown]
	v_mul_f64 v[130:131], v[98:99], v[46:47]
	v_mul_f64 v[46:47], v[96:97], v[46:47]
	v_fma_f64 v[48:49], v[48:49], v[0:1], -v[108:109]
	v_fma_f64 v[50:51], v[50:51], v[0:1], v[2:3]
	v_fma_f64 v[52:53], v[52:53], v[8:9], -v[110:111]
	v_fma_f64 v[8:9], v[54:55], v[8:9], v[10:11]
	;; [unrolled: 2-line block ×3, first 2 shown]
	v_fma_f64 v[54:55], v[58:59], v[4:5], v[6:7]
	v_fma_f64 v[12:13], v[60:61], v[12:13], -v[114:115]
	ds_read_b128 v[0:3], v150
	ds_read_b128 v[4:7], v150 offset:1760
	v_fma_f64 v[56:57], v[64:65], v[16:17], -v[116:117]
	v_fma_f64 v[16:17], v[66:67], v[16:17], v[18:19]
	v_fma_f64 v[18:19], v[68:69], v[24:25], -v[118:119]
	v_fma_f64 v[24:25], v[70:71], v[24:25], v[26:27]
	;; [unrolled: 2-line block ×8, first 2 shown]
	v_add_f64 v[58:59], v[52:53], v[10:11]
	v_add_f64 v[64:65], v[48:49], -v[52:53]
	s_waitcnt lgkmcnt(1)
	v_add_f64 v[46:47], v[0:1], v[48:49]
	v_add_f64 v[66:67], v[12:13], -v[10:11]
	v_add_f64 v[74:75], v[2:3], v[50:51]
	v_add_f64 v[76:77], v[8:9], v[54:55]
	;; [unrolled: 1-line block ×4, first 2 shown]
	v_add_f64 v[70:71], v[52:53], -v[48:49]
	v_add_f64 v[72:73], v[10:11], -v[12:13]
	s_waitcnt lgkmcnt(0)
	v_add_f64 v[92:93], v[4:5], v[56:57]
	v_add_f64 v[94:95], v[18:19], v[26:27]
	;; [unrolled: 1-line block ×6, first 2 shown]
	v_add_f64 v[84:85], v[50:51], -v[8:9]
	v_add_f64 v[86:87], v[14:15], -v[54:55]
	;; [unrolled: 1-line block ×6, first 2 shown]
	v_add_f64 v[132:133], v[80:81], v[30:31]
	v_add_f64 v[134:135], v[34:35], v[38:39]
	;; [unrolled: 1-line block ×6, first 2 shown]
	v_add_f64 v[60:61], v[50:51], -v[14:15]
	v_add_f64 v[62:63], v[8:9], -v[54:55]
	;; [unrolled: 1-line block ×11, first 2 shown]
	v_add_f64 v[46:47], v[46:47], v[52:53]
	v_fma_f64 v[52:53], v[58:59], -0.5, v[0:1]
	v_add_f64 v[58:59], v[64:65], v[66:67]
	v_add_f64 v[8:9], v[74:75], v[8:9]
	v_fma_f64 v[66:67], v[76:77], -0.5, v[2:3]
	v_fma_f64 v[0:1], v[68:69], -0.5, v[0:1]
	;; [unrolled: 1-line block ×3, first 2 shown]
	v_add_f64 v[114:115], v[18:19], -v[56:57]
	v_add_f64 v[116:117], v[26:27], -v[22:23]
	;; [unrolled: 1-line block ×5, first 2 shown]
	v_add_f64 v[64:65], v[70:71], v[72:73]
	v_add_f64 v[18:19], v[92:93], v[18:19]
	v_fma_f64 v[70:71], v[94:95], -0.5, v[4:5]
	v_fma_f64 v[4:5], v[112:113], -0.5, v[4:5]
	v_add_f64 v[24:25], v[118:119], v[24:25]
	v_fma_f64 v[76:77], v[120:121], -0.5, v[6:7]
	v_fma_f64 v[6:7], v[128:129], -0.5, v[6:7]
	v_add_f64 v[126:127], v[28:29], -v[20:21]
	v_add_f64 v[138:139], v[36:37], -v[40:41]
	;; [unrolled: 1-line block ×6, first 2 shown]
	v_add_f64 v[68:69], v[84:85], v[86:87]
	v_add_f64 v[86:87], v[16:17], v[130:131]
	;; [unrolled: 1-line block ×3, first 2 shown]
	v_fma_f64 v[34:35], v[134:135], -0.5, v[80:81]
	v_add_f64 v[36:37], v[151:152], v[36:37]
	v_fma_f64 v[92:93], v[153:154], -0.5, v[82:83]
	v_fma_f64 v[80:81], v[144:145], -0.5, v[80:81]
	;; [unrolled: 1-line block ×3, first 2 shown]
	v_add_f64 v[90:91], v[54:55], -v[14:15]
	v_add_f64 v[72:73], v[108:109], v[110:111]
	v_add_f64 v[108:109], v[32:33], v[163:164]
	v_add_f64 v[10:11], v[46:47], v[10:11]
	v_fma_f64 v[32:33], v[60:61], s[14:15], v[52:53]
	v_add_f64 v[8:9], v[8:9], v[54:55]
	v_fma_f64 v[54:55], v[48:49], s[16:17], v[66:67]
	v_fma_f64 v[46:47], v[60:61], s[16:17], v[52:53]
	;; [unrolled: 1-line block ×5, first 2 shown]
	v_add_f64 v[74:75], v[114:115], v[116:117]
	v_fma_f64 v[114:115], v[78:79], s[16:17], v[2:3]
	v_fma_f64 v[66:67], v[48:49], s[14:15], v[66:67]
	v_add_f64 v[18:19], v[18:19], v[26:27]
	v_fma_f64 v[26:27], v[96:97], s[14:15], v[70:71]
	v_fma_f64 v[70:71], v[96:97], s[16:17], v[70:71]
	;; [unrolled: 1-line block ×4, first 2 shown]
	v_add_f64 v[20:21], v[24:25], v[20:21]
	v_fma_f64 v[24:25], v[56:57], s[16:17], v[76:77]
	v_fma_f64 v[120:121], v[122:123], s[14:15], v[6:7]
	v_add_f64 v[84:85], v[124:125], v[126:127]
	v_fma_f64 v[124:125], v[122:123], s[16:17], v[6:7]
	v_fma_f64 v[76:77], v[56:57], s[14:15], v[76:77]
	v_add_f64 v[142:143], v[42:43], -v[38:39]
	v_add_f64 v[148:149], v[38:39], -v[42:43]
	;; [unrolled: 1-line block ×3, first 2 shown]
	v_add_f64 v[16:17], v[16:17], v[38:39]
	v_fma_f64 v[38:39], v[136:137], s[14:15], v[34:35]
	v_add_f64 v[36:37], v[36:37], v[40:41]
	v_fma_f64 v[40:41], v[30:31], s[16:17], v[92:93]
	v_fma_f64 v[126:127], v[138:139], s[16:17], v[80:81]
	;; [unrolled: 1-line block ×7, first 2 shown]
	v_add_f64 v[0:1], v[10:11], v[12:13]
	v_fma_f64 v[12:13], v[62:63], s[6:7], v[32:33]
	v_add_f64 v[2:3], v[8:9], v[14:15]
	v_fma_f64 v[14:15], v[78:79], s[8:9], v[54:55]
	v_add_f64 v[50:51], v[50:51], v[90:91]
	v_fma_f64 v[32:33], v[62:63], s[8:9], v[46:47]
	v_fma_f64 v[46:47], v[60:61], s[6:7], v[52:53]
	v_fma_f64 v[52:53], v[60:61], s[8:9], v[110:111]
	;; [unrolled: 1-line block ×13, first 2 shown]
	v_add_f64 v[88:89], v[140:141], v[142:143]
	v_add_f64 v[94:95], v[157:158], v[159:160]
	v_fma_f64 v[110:111], v[138:139], s[6:7], v[38:39]
	v_fma_f64 v[116:117], v[155:156], s[8:9], v[40:41]
	v_add_f64 v[90:91], v[146:147], v[148:149]
	v_fma_f64 v[114:115], v[136:137], s[6:7], v[126:127]
	v_fma_f64 v[118:119], v[30:31], s[8:9], v[128:129]
	;; [unrolled: 1-line block ×6, first 2 shown]
	v_add_f64 v[4:5], v[18:19], v[22:23]
	v_add_f64 v[6:7], v[20:21], v[28:29]
	;; [unrolled: 1-line block ×4, first 2 shown]
	v_fma_f64 v[12:13], v[58:59], s[4:5], v[12:13]
	v_fma_f64 v[14:15], v[68:69], s[4:5], v[14:15]
	;; [unrolled: 1-line block ×24, first 2 shown]
	s_barrier
	buffer_gl0_inv
	ds_write_b128 v150, v[0:3]
	ds_write_b128 v150, v[4:7] offset:1760
	ds_write_b128 v150, v[8:11] offset:3520
	;; [unrolled: 1-line block ×14, first 2 shown]
	s_waitcnt lgkmcnt(0)
	s_barrier
	buffer_gl0_inv
	s_and_saveexec_b32 s0, vcc_lo
	s_cbranch_execz .LBB0_29
; %bb.28:
	v_mul_lo_u32 v2, s3, v104
	v_mul_lo_u32 v3, s2, v105
	v_mad_u64_u32 v[0:1], null, s2, v104, 0
	v_lshl_add_u32 v26, v102, 4, 0
	v_mov_b32_e32 v103, v107
	v_lshlrev_b64 v[8:9], 4, v[100:101]
	v_add_nc_u32_e32 v106, 0x6e, v102
	v_add3_u32 v1, v1, v3, v2
	v_lshlrev_b64 v[12:13], 4, v[102:103]
	v_lshlrev_b64 v[10:11], 4, v[0:1]
	ds_read_b128 v[0:3], v26
	ds_read_b128 v[4:7], v26 offset:1760
	v_add_co_u32 v14, vcc_lo, s10, v10
	v_add_co_ci_u32_e32 v15, vcc_lo, s11, v11, vcc_lo
	v_lshlrev_b64 v[10:11], 4, v[106:107]
	v_add_co_u32 v30, vcc_lo, v14, v8
	v_add_co_ci_u32_e32 v31, vcc_lo, v15, v9, vcc_lo
	v_add_nc_u32_e32 v106, 0xdc, v102
	v_add_co_u32 v8, vcc_lo, v30, v12
	v_add_co_ci_u32_e32 v9, vcc_lo, v31, v13, vcc_lo
	v_lshlrev_b64 v[12:13], 4, v[106:107]
	v_add_co_u32 v10, vcc_lo, v30, v10
	v_add_co_ci_u32_e32 v11, vcc_lo, v31, v11, vcc_lo
	v_add_nc_u32_e32 v106, 0x14a, v102
	v_add_co_u32 v18, vcc_lo, v30, v12
	s_waitcnt lgkmcnt(1)
	global_store_dwordx4 v[8:9], v[0:3], off
	s_waitcnt lgkmcnt(0)
	global_store_dwordx4 v[10:11], v[4:7], off
	v_add_co_ci_u32_e32 v19, vcc_lo, v31, v13, vcc_lo
	v_lshlrev_b64 v[16:17], 4, v[106:107]
	v_add_nc_u32_e32 v106, 0x1b8, v102
	ds_read_b128 v[0:3], v26 offset:3520
	ds_read_b128 v[4:7], v26 offset:5280
	;; [unrolled: 1-line block ×4, first 2 shown]
	v_lshlrev_b64 v[20:21], 4, v[106:107]
	v_add_nc_u32_e32 v106, 0x226, v102
	v_add_co_u32 v16, vcc_lo, v30, v16
	v_add_co_ci_u32_e32 v17, vcc_lo, v31, v17, vcc_lo
	v_lshlrev_b64 v[22:23], 4, v[106:107]
	v_add_nc_u32_e32 v106, 0x294, v102
	v_add_co_u32 v20, vcc_lo, v30, v20
	v_add_co_ci_u32_e32 v21, vcc_lo, v31, v21, vcc_lo
	v_add_co_u32 v22, vcc_lo, v30, v22
	v_lshlrev_b64 v[24:25], 4, v[106:107]
	v_add_nc_u32_e32 v106, 0x302, v102
	v_add_co_ci_u32_e32 v23, vcc_lo, v31, v23, vcc_lo
	s_waitcnt lgkmcnt(3)
	global_store_dwordx4 v[18:19], v[0:3], off
	s_waitcnt lgkmcnt(2)
	global_store_dwordx4 v[16:17], v[4:7], off
	s_waitcnt lgkmcnt(1)
	global_store_dwordx4 v[20:21], v[8:11], off
	s_waitcnt lgkmcnt(0)
	global_store_dwordx4 v[22:23], v[12:15], off
	ds_read_b128 v[0:3], v26 offset:10560
	ds_read_b128 v[4:7], v26 offset:12320
	v_lshlrev_b64 v[16:17], 4, v[106:107]
	v_add_nc_u32_e32 v106, 0x370, v102
	ds_read_b128 v[8:11], v26 offset:14080
	ds_read_b128 v[12:15], v26 offset:15840
	v_add_co_u32 v18, vcc_lo, v30, v24
	v_add_co_ci_u32_e32 v19, vcc_lo, v31, v25, vcc_lo
	v_lshlrev_b64 v[20:21], 4, v[106:107]
	v_add_nc_u32_e32 v106, 0x3de, v102
	v_add_co_u32 v16, vcc_lo, v30, v16
	v_add_co_ci_u32_e32 v17, vcc_lo, v31, v17, vcc_lo
	v_lshlrev_b64 v[22:23], 4, v[106:107]
	v_add_nc_u32_e32 v106, 0x44c, v102
	;; [unrolled: 4-line block ×3, first 2 shown]
	v_add_co_u32 v22, vcc_lo, v30, v22
	v_add_co_ci_u32_e32 v23, vcc_lo, v31, v23, vcc_lo
	s_waitcnt lgkmcnt(3)
	global_store_dwordx4 v[18:19], v[0:3], off
	s_waitcnt lgkmcnt(2)
	global_store_dwordx4 v[16:17], v[4:7], off
	;; [unrolled: 2-line block ×4, first 2 shown]
	v_lshlrev_b64 v[8:9], 4, v[106:107]
	v_add_co_u32 v20, vcc_lo, v30, v24
	v_add_nc_u32_e32 v106, 0x528, v102
	v_add_co_ci_u32_e32 v21, vcc_lo, v31, v25, vcc_lo
	v_add_co_u32 v24, vcc_lo, v30, v8
	ds_read_b128 v[0:3], v26 offset:17600
	ds_read_b128 v[4:7], v26 offset:19360
	v_add_co_ci_u32_e32 v25, vcc_lo, v31, v9, vcc_lo
	ds_read_b128 v[8:11], v26 offset:21120
	ds_read_b128 v[12:15], v26 offset:22880
	;; [unrolled: 1-line block ×3, first 2 shown]
	v_lshlrev_b64 v[22:23], 4, v[106:107]
	v_add_nc_u32_e32 v106, 0x596, v102
	v_lshlrev_b64 v[26:27], 4, v[106:107]
	v_add_nc_u32_e32 v106, 0x604, v102
	v_add_co_u32 v22, vcc_lo, v30, v22
	v_add_co_ci_u32_e32 v23, vcc_lo, v31, v23, vcc_lo
	v_lshlrev_b64 v[28:29], 4, v[106:107]
	v_add_co_u32 v26, vcc_lo, v30, v26
	v_add_co_ci_u32_e32 v27, vcc_lo, v31, v27, vcc_lo
	v_add_co_u32 v28, vcc_lo, v30, v28
	v_add_co_ci_u32_e32 v29, vcc_lo, v31, v29, vcc_lo
	s_waitcnt lgkmcnt(4)
	global_store_dwordx4 v[20:21], v[0:3], off
	s_waitcnt lgkmcnt(3)
	global_store_dwordx4 v[24:25], v[4:7], off
	;; [unrolled: 2-line block ×5, first 2 shown]
.LBB0_29:
	s_endpgm
	.section	.rodata,"a",@progbits
	.p2align	6, 0x0
	.amdhsa_kernel fft_rtc_fwd_len1650_factors_11_2_3_5_5_wgs_110_tpt_110_halfLds_dp_op_CI_CI_unitstride_sbrr_C2R_dirReg
		.amdhsa_group_segment_fixed_size 0
		.amdhsa_private_segment_fixed_size 0
		.amdhsa_kernarg_size 104
		.amdhsa_user_sgpr_count 6
		.amdhsa_user_sgpr_private_segment_buffer 1
		.amdhsa_user_sgpr_dispatch_ptr 0
		.amdhsa_user_sgpr_queue_ptr 0
		.amdhsa_user_sgpr_kernarg_segment_ptr 1
		.amdhsa_user_sgpr_dispatch_id 0
		.amdhsa_user_sgpr_flat_scratch_init 0
		.amdhsa_user_sgpr_private_segment_size 0
		.amdhsa_wavefront_size32 1
		.amdhsa_uses_dynamic_stack 0
		.amdhsa_system_sgpr_private_segment_wavefront_offset 0
		.amdhsa_system_sgpr_workgroup_id_x 1
		.amdhsa_system_sgpr_workgroup_id_y 0
		.amdhsa_system_sgpr_workgroup_id_z 0
		.amdhsa_system_sgpr_workgroup_info 0
		.amdhsa_system_vgpr_workitem_id 0
		.amdhsa_next_free_vgpr 197
		.amdhsa_next_free_sgpr 40
		.amdhsa_reserve_vcc 1
		.amdhsa_reserve_flat_scratch 0
		.amdhsa_float_round_mode_32 0
		.amdhsa_float_round_mode_16_64 0
		.amdhsa_float_denorm_mode_32 3
		.amdhsa_float_denorm_mode_16_64 3
		.amdhsa_dx10_clamp 1
		.amdhsa_ieee_mode 1
		.amdhsa_fp16_overflow 0
		.amdhsa_workgroup_processor_mode 1
		.amdhsa_memory_ordered 1
		.amdhsa_forward_progress 0
		.amdhsa_shared_vgpr_count 0
		.amdhsa_exception_fp_ieee_invalid_op 0
		.amdhsa_exception_fp_denorm_src 0
		.amdhsa_exception_fp_ieee_div_zero 0
		.amdhsa_exception_fp_ieee_overflow 0
		.amdhsa_exception_fp_ieee_underflow 0
		.amdhsa_exception_fp_ieee_inexact 0
		.amdhsa_exception_int_div_zero 0
	.end_amdhsa_kernel
	.text
.Lfunc_end0:
	.size	fft_rtc_fwd_len1650_factors_11_2_3_5_5_wgs_110_tpt_110_halfLds_dp_op_CI_CI_unitstride_sbrr_C2R_dirReg, .Lfunc_end0-fft_rtc_fwd_len1650_factors_11_2_3_5_5_wgs_110_tpt_110_halfLds_dp_op_CI_CI_unitstride_sbrr_C2R_dirReg
                                        ; -- End function
	.section	.AMDGPU.csdata,"",@progbits
; Kernel info:
; codeLenInByte = 17716
; NumSgprs: 42
; NumVgprs: 197
; ScratchSize: 0
; MemoryBound: 0
; FloatMode: 240
; IeeeMode: 1
; LDSByteSize: 0 bytes/workgroup (compile time only)
; SGPRBlocks: 5
; VGPRBlocks: 24
; NumSGPRsForWavesPerEU: 42
; NumVGPRsForWavesPerEU: 197
; Occupancy: 4
; WaveLimiterHint : 1
; COMPUTE_PGM_RSRC2:SCRATCH_EN: 0
; COMPUTE_PGM_RSRC2:USER_SGPR: 6
; COMPUTE_PGM_RSRC2:TRAP_HANDLER: 0
; COMPUTE_PGM_RSRC2:TGID_X_EN: 1
; COMPUTE_PGM_RSRC2:TGID_Y_EN: 0
; COMPUTE_PGM_RSRC2:TGID_Z_EN: 0
; COMPUTE_PGM_RSRC2:TIDIG_COMP_CNT: 0
	.text
	.p2alignl 6, 3214868480
	.fill 48, 4, 3214868480
	.type	__hip_cuid_10d166f8749b39a9,@object ; @__hip_cuid_10d166f8749b39a9
	.section	.bss,"aw",@nobits
	.globl	__hip_cuid_10d166f8749b39a9
__hip_cuid_10d166f8749b39a9:
	.byte	0                               ; 0x0
	.size	__hip_cuid_10d166f8749b39a9, 1

	.ident	"AMD clang version 19.0.0git (https://github.com/RadeonOpenCompute/llvm-project roc-6.4.0 25133 c7fe45cf4b819c5991fe208aaa96edf142730f1d)"
	.section	".note.GNU-stack","",@progbits
	.addrsig
	.addrsig_sym __hip_cuid_10d166f8749b39a9
	.amdgpu_metadata
---
amdhsa.kernels:
  - .args:
      - .actual_access:  read_only
        .address_space:  global
        .offset:         0
        .size:           8
        .value_kind:     global_buffer
      - .offset:         8
        .size:           8
        .value_kind:     by_value
      - .actual_access:  read_only
        .address_space:  global
        .offset:         16
        .size:           8
        .value_kind:     global_buffer
      - .actual_access:  read_only
        .address_space:  global
        .offset:         24
        .size:           8
        .value_kind:     global_buffer
      - .actual_access:  read_only
        .address_space:  global
        .offset:         32
        .size:           8
        .value_kind:     global_buffer
      - .offset:         40
        .size:           8
        .value_kind:     by_value
      - .actual_access:  read_only
        .address_space:  global
        .offset:         48
        .size:           8
        .value_kind:     global_buffer
      - .actual_access:  read_only
        .address_space:  global
        .offset:         56
        .size:           8
        .value_kind:     global_buffer
      - .offset:         64
        .size:           4
        .value_kind:     by_value
      - .actual_access:  read_only
        .address_space:  global
        .offset:         72
        .size:           8
        .value_kind:     global_buffer
      - .actual_access:  read_only
        .address_space:  global
        .offset:         80
        .size:           8
        .value_kind:     global_buffer
      - .actual_access:  read_only
        .address_space:  global
        .offset:         88
        .size:           8
        .value_kind:     global_buffer
      - .actual_access:  write_only
        .address_space:  global
        .offset:         96
        .size:           8
        .value_kind:     global_buffer
    .group_segment_fixed_size: 0
    .kernarg_segment_align: 8
    .kernarg_segment_size: 104
    .language:       OpenCL C
    .language_version:
      - 2
      - 0
    .max_flat_workgroup_size: 110
    .name:           fft_rtc_fwd_len1650_factors_11_2_3_5_5_wgs_110_tpt_110_halfLds_dp_op_CI_CI_unitstride_sbrr_C2R_dirReg
    .private_segment_fixed_size: 0
    .sgpr_count:     42
    .sgpr_spill_count: 0
    .symbol:         fft_rtc_fwd_len1650_factors_11_2_3_5_5_wgs_110_tpt_110_halfLds_dp_op_CI_CI_unitstride_sbrr_C2R_dirReg.kd
    .uniform_work_group_size: 1
    .uses_dynamic_stack: false
    .vgpr_count:     197
    .vgpr_spill_count: 0
    .wavefront_size: 32
    .workgroup_processor_mode: 1
amdhsa.target:   amdgcn-amd-amdhsa--gfx1030
amdhsa.version:
  - 1
  - 2
...

	.end_amdgpu_metadata
